;; amdgpu-corpus repo=ROCm/rocFFT kind=compiled arch=gfx906 opt=O3
	.text
	.amdgcn_target "amdgcn-amd-amdhsa--gfx906"
	.amdhsa_code_object_version 6
	.protected	bluestein_single_back_len640_dim1_half_op_CI_CI ; -- Begin function bluestein_single_back_len640_dim1_half_op_CI_CI
	.globl	bluestein_single_back_len640_dim1_half_op_CI_CI
	.p2align	8
	.type	bluestein_single_back_len640_dim1_half_op_CI_CI,@function
bluestein_single_back_len640_dim1_half_op_CI_CI: ; @bluestein_single_back_len640_dim1_half_op_CI_CI
; %bb.0:
	s_load_dwordx4 s[12:15], s[4:5], 0x28
	v_lshrrev_b32_e32 v1, 6, v0
	v_mov_b32_e32 v9, 0
	v_lshl_or_b32 v25, s6, 1, v1
	v_mov_b32_e32 v26, v9
	s_waitcnt lgkmcnt(0)
	v_cmp_gt_u64_e32 vcc, s[12:13], v[25:26]
	s_and_saveexec_b64 s[0:1], vcc
	s_cbranch_execz .LBB0_23
; %bb.1:
	s_load_dwordx4 s[8:11], s[4:5], 0x18
	v_and_b32_e32 v47, 63, v0
	v_lshlrev_b32_e32 v34, 2, v47
	v_and_b32_e32 v0, 64, v0
	s_waitcnt lgkmcnt(0)
	s_load_dwordx4 s[0:3], s[8:9], 0x0
	s_waitcnt lgkmcnt(0)
	v_mad_u64_u32 v[1:2], s[6:7], s2, v25, 0
	v_mad_u64_u32 v[3:4], s[6:7], s0, v47, 0
	s_mul_i32 s6, s1, 0x50
	s_mul_hi_u32 s7, s0, 0x50
	v_mad_u64_u32 v[5:6], s[2:3], s3, v25, v[2:3]
	s_add_i32 s7, s7, s6
	s_mul_i32 s6, s0, 0x50
	v_mad_u64_u32 v[6:7], s[2:3], s1, v47, v[4:5]
	v_mov_b32_e32 v2, v5
	v_lshlrev_b64 v[1:2], 2, v[1:2]
	v_mov_b32_e32 v4, v6
	s_load_dwordx2 s[2:3], s[4:5], 0x0
	v_mov_b32_e32 v7, s15
	v_lshlrev_b64 v[3:4], 2, v[3:4]
	v_add_co_u32_e32 v1, vcc, s14, v1
	v_addc_co_u32_e32 v2, vcc, v7, v2, vcc
	v_add_co_u32_e32 v1, vcc, v1, v3
	v_addc_co_u32_e32 v2, vcc, v2, v4, vcc
	s_lshl_b64 s[12:13], s[6:7], 2
	s_load_dwordx2 s[6:7], s[4:5], 0x38
	global_load_dword v3, v[1:2], off
	v_mov_b32_e32 v4, s13
	v_add_co_u32_e32 v1, vcc, s12, v1
	s_waitcnt lgkmcnt(0)
	global_load_dword v49, v34, s[2:3]
	v_addc_co_u32_e32 v2, vcc, v2, v4, vcc
	global_load_dword v5, v[1:2], off
	global_load_dword v48, v34, s[2:3] offset:320
	v_add_co_u32_e32 v1, vcc, s12, v1
	v_addc_co_u32_e32 v2, vcc, v2, v4, vcc
	global_load_dword v6, v[1:2], off
	global_load_dword v46, v34, s[2:3] offset:640
	v_add_co_u32_e32 v1, vcc, s12, v1
	;; [unrolled: 4-line block ×6, first 2 shown]
	v_addc_co_u32_e32 v2, vcc, v2, v4, vcc
	global_load_dword v12, v[1:2], off
	global_load_dword v41, v34, s[2:3] offset:2240
	v_mov_b32_e32 v4, 0x280
	v_cmp_ne_u32_e32 vcc, 0, v0
	v_cndmask_b32_e32 v51, 0, v4, vcc
	v_or_b32_e32 v0, v51, v47
	v_lshlrev_b32_e32 v50, 2, v0
	v_mov_b32_e32 v0, s3
	v_add_co_u32_e32 v23, vcc, s2, v34
	v_addc_co_u32_e32 v24, vcc, 0, v0, vcc
	v_lshl_or_b32 v40, v51, 2, v34
	s_load_dwordx4 s[8:11], s[10:11], 0x0
	s_mov_b64 s[14:15], 0x50
	s_waitcnt vmcnt(15)
	v_lshrrev_b32_e32 v0, 16, v3
	s_waitcnt vmcnt(14)
	v_mul_f16_sdwa v4, v49, v3 dst_sel:DWORD dst_unused:UNUSED_PAD src0_sel:WORD_1 src1_sel:DWORD
	v_mul_f16_sdwa v13, v49, v0 dst_sel:DWORD dst_unused:UNUSED_PAD src0_sel:WORD_1 src1_sel:DWORD
	v_fma_f16 v0, v49, v0, -v4
	s_waitcnt vmcnt(13)
	v_lshrrev_b32_e32 v4, 16, v5
	s_waitcnt vmcnt(12)
	v_mul_f16_sdwa v14, v48, v5 dst_sel:DWORD dst_unused:UNUSED_PAD src0_sel:WORD_1 src1_sel:DWORD
	v_fma_f16 v3, v49, v3, v13
	v_mul_f16_sdwa v13, v48, v4 dst_sel:DWORD dst_unused:UNUSED_PAD src0_sel:WORD_1 src1_sel:DWORD
	v_fma_f16 v4, v48, v4, -v14
	s_waitcnt vmcnt(11)
	v_lshrrev_b32_e32 v14, 16, v6
	s_waitcnt vmcnt(10)
	v_mul_f16_sdwa v15, v46, v6 dst_sel:DWORD dst_unused:UNUSED_PAD src0_sel:WORD_1 src1_sel:DWORD
	v_pack_b32_f16 v0, v3, v0
	v_fma_f16 v3, v48, v5, v13
	v_mul_f16_sdwa v5, v46, v14 dst_sel:DWORD dst_unused:UNUSED_PAD src0_sel:WORD_1 src1_sel:DWORD
	ds_write_b32 v50, v0
	v_pack_b32_f16 v0, v3, v4
	v_fma_f16 v3, v46, v6, v5
	v_fma_f16 v4, v46, v14, -v15
	v_pack_b32_f16 v3, v3, v4
	ds_write2_b32 v40, v0, v3 offset0:80 offset1:160
	s_waitcnt vmcnt(9)
	v_lshrrev_b32_e32 v0, 16, v7
	s_waitcnt vmcnt(8)
	v_mul_f16_sdwa v3, v45, v0 dst_sel:DWORD dst_unused:UNUSED_PAD src0_sel:WORD_1 src1_sel:DWORD
	v_mul_f16_sdwa v4, v45, v7 dst_sel:DWORD dst_unused:UNUSED_PAD src0_sel:WORD_1 src1_sel:DWORD
	v_fma_f16 v3, v45, v7, v3
	v_fma_f16 v0, v45, v0, -v4
	v_pack_b32_f16 v0, v3, v0
	s_waitcnt vmcnt(7)
	v_lshrrev_b32_e32 v3, 16, v8
	s_waitcnt vmcnt(6)
	v_mul_f16_sdwa v4, v44, v3 dst_sel:DWORD dst_unused:UNUSED_PAD src0_sel:WORD_1 src1_sel:DWORD
	v_mul_f16_sdwa v5, v44, v8 dst_sel:DWORD dst_unused:UNUSED_PAD src0_sel:WORD_1 src1_sel:DWORD
	v_fma_f16 v4, v44, v8, v4
	v_fma_f16 v3, v44, v3, -v5
	v_pack_b32_f16 v4, v4, v3
	v_add_u32_e32 v3, 0x200, v40
	ds_write2_b32 v3, v0, v4 offset0:112 offset1:192
	s_waitcnt vmcnt(5)
	v_lshrrev_b32_e32 v0, 16, v10
	s_waitcnt vmcnt(4)
	v_mul_f16_sdwa v4, v43, v0 dst_sel:DWORD dst_unused:UNUSED_PAD src0_sel:WORD_1 src1_sel:DWORD
	v_mul_f16_sdwa v5, v43, v10 dst_sel:DWORD dst_unused:UNUSED_PAD src0_sel:WORD_1 src1_sel:DWORD
	v_fma_f16 v4, v43, v10, v4
	v_fma_f16 v0, v43, v0, -v5
	v_pack_b32_f16 v0, v4, v0
	s_waitcnt vmcnt(3)
	v_lshrrev_b32_e32 v4, 16, v11
	s_waitcnt vmcnt(2)
	v_mul_f16_sdwa v5, v42, v4 dst_sel:DWORD dst_unused:UNUSED_PAD src0_sel:WORD_1 src1_sel:DWORD
	v_mul_f16_sdwa v6, v42, v11 dst_sel:DWORD dst_unused:UNUSED_PAD src0_sel:WORD_1 src1_sel:DWORD
	v_fma_f16 v5, v42, v11, v5
	v_fma_f16 v4, v42, v4, -v6
	v_pack_b32_f16 v5, v5, v4
	v_add_u32_e32 v4, 0x400, v40
	ds_write2_b32 v4, v0, v5 offset0:144 offset1:224
	s_waitcnt vmcnt(1)
	v_lshrrev_b32_e32 v0, 16, v12
	s_waitcnt vmcnt(0)
	v_mul_f16_sdwa v5, v41, v0 dst_sel:DWORD dst_unused:UNUSED_PAD src0_sel:WORD_1 src1_sel:DWORD
	v_mul_f16_sdwa v6, v41, v12 dst_sel:DWORD dst_unused:UNUSED_PAD src0_sel:WORD_1 src1_sel:DWORD
	v_or_b32_e32 v8, 64, v47
	v_fma_f16 v5, v41, v12, v5
	v_fma_f16 v0, v41, v0, -v6
	v_cmp_gt_u64_e32 vcc, s[14:15], v[8:9]
	v_pack_b32_f16 v0, v5, v0
	ds_write_b32 v40, v0 offset:2240
	s_and_saveexec_b64 s[14:15], vcc
	s_cbranch_execz .LBB0_3
; %bb.2:
	v_mov_b32_e32 v0, 0xfffff840
	v_mad_u64_u32 v[0:1], s[16:17], s0, v0, v[1:2]
	s_mulk_i32 s1, 0xf840
	s_sub_i32 s0, s1, s0
	v_add_u32_e32 v1, s0, v1
	global_load_dword v2, v[0:1], off
	global_load_dword v5, v[23:24], off offset:256
	v_mov_b32_e32 v6, s13
	v_add_co_u32_e64 v0, s[0:1], s12, v0
	v_addc_co_u32_e64 v1, s[0:1], v1, v6, s[0:1]
	global_load_dword v7, v[0:1], off
	global_load_dword v9, v[23:24], off offset:576
	v_add_co_u32_e64 v0, s[0:1], s12, v0
	v_addc_co_u32_e64 v1, s[0:1], v1, v6, s[0:1]
	global_load_dword v10, v[0:1], off
	global_load_dword v11, v[23:24], off offset:896
	;; [unrolled: 4-line block ×7, first 2 shown]
	s_waitcnt vmcnt(15)
	v_lshrrev_b32_e32 v0, 16, v2
	s_waitcnt vmcnt(14)
	v_mul_f16_sdwa v1, v5, v2 dst_sel:DWORD dst_unused:UNUSED_PAD src0_sel:WORD_1 src1_sel:DWORD
	v_mul_f16_sdwa v21, v5, v0 dst_sel:DWORD dst_unused:UNUSED_PAD src0_sel:WORD_1 src1_sel:DWORD
	v_fma_f16 v0, v5, v0, -v1
	v_fma_f16 v2, v5, v2, v21
	v_pack_b32_f16 v0, v2, v0
	s_waitcnt vmcnt(13)
	v_lshrrev_b32_e32 v1, 16, v7
	s_waitcnt vmcnt(12)
	v_mul_f16_sdwa v22, v9, v7 dst_sel:DWORD dst_unused:UNUSED_PAD src0_sel:WORD_1 src1_sel:DWORD
	v_mul_f16_sdwa v5, v9, v1 dst_sel:DWORD dst_unused:UNUSED_PAD src0_sel:WORD_1 src1_sel:DWORD
	v_fma_f16 v1, v9, v1, -v22
	v_fma_f16 v2, v9, v7, v5
	s_waitcnt vmcnt(11)
	v_lshrrev_b32_e32 v21, 16, v10
	s_waitcnt vmcnt(10)
	v_mul_f16_sdwa v22, v11, v10 dst_sel:DWORD dst_unused:UNUSED_PAD src0_sel:WORD_1 src1_sel:DWORD
	v_mul_f16_sdwa v5, v11, v21 dst_sel:DWORD dst_unused:UNUSED_PAD src0_sel:WORD_1 src1_sel:DWORD
	v_fma_f16 v7, v11, v21, -v22
	v_pack_b32_f16 v1, v2, v1
	s_waitcnt vmcnt(9)
	v_lshrrev_b32_e32 v9, 16, v12
	s_waitcnt vmcnt(8)
	v_mul_f16_sdwa v21, v13, v12 dst_sel:DWORD dst_unused:UNUSED_PAD src0_sel:WORD_1 src1_sel:DWORD
	v_fma_f16 v2, v11, v10, v5
	v_mul_f16_sdwa v5, v13, v9 dst_sel:DWORD dst_unused:UNUSED_PAD src0_sel:WORD_1 src1_sel:DWORD
	v_fma_f16 v9, v13, v9, -v21
	s_waitcnt vmcnt(7)
	v_lshrrev_b32_e32 v10, 16, v14
	s_waitcnt vmcnt(6)
	v_mul_f16_sdwa v11, v15, v14 dst_sel:DWORD dst_unused:UNUSED_PAD src0_sel:WORD_1 src1_sel:DWORD
	ds_write2_b32 v40, v0, v1 offset0:64 offset1:144
	v_pack_b32_f16 v0, v2, v7
	v_fma_f16 v1, v13, v12, v5
	s_waitcnt vmcnt(5)
	v_lshrrev_b32_e32 v7, 16, v16
	v_mul_f16_sdwa v2, v15, v10 dst_sel:DWORD dst_unused:UNUSED_PAD src0_sel:WORD_1 src1_sel:DWORD
	v_fma_f16 v5, v15, v10, -v11
	s_waitcnt vmcnt(4)
	v_mul_f16_sdwa v10, v17, v16 dst_sel:DWORD dst_unused:UNUSED_PAD src0_sel:WORD_1 src1_sel:DWORD
	v_pack_b32_f16 v1, v1, v9
	v_mul_f16_sdwa v9, v17, v7 dst_sel:DWORD dst_unused:UNUSED_PAD src0_sel:WORD_1 src1_sel:DWORD
	v_fma_f16 v2, v15, v14, v2
	v_fma_f16 v7, v17, v7, -v10
	s_waitcnt vmcnt(3)
	v_lshrrev_b32_e32 v10, 16, v18
	ds_write2_b32 v3, v0, v1 offset0:96 offset1:176
	v_fma_f16 v1, v17, v16, v9
	s_waitcnt vmcnt(2)
	v_mul_f16_sdwa v11, v19, v18 dst_sel:DWORD dst_unused:UNUSED_PAD src0_sel:WORD_1 src1_sel:DWORD
	v_pack_b32_f16 v0, v2, v5
	v_mul_f16_sdwa v2, v19, v10 dst_sel:DWORD dst_unused:UNUSED_PAD src0_sel:WORD_1 src1_sel:DWORD
	v_pack_b32_f16 v1, v1, v7
	v_fma_f16 v5, v19, v10, -v11
	v_fma_f16 v2, v19, v18, v2
	ds_write2_b32 v4, v0, v1 offset0:128 offset1:208
	s_waitcnt vmcnt(1)
	v_lshrrev_b32_e32 v1, 16, v6
	v_pack_b32_f16 v0, v2, v5
	s_waitcnt vmcnt(0)
	v_mul_f16_sdwa v2, v20, v1 dst_sel:DWORD dst_unused:UNUSED_PAD src0_sel:WORD_1 src1_sel:DWORD
	v_mul_f16_sdwa v5, v20, v6 dst_sel:DWORD dst_unused:UNUSED_PAD src0_sel:WORD_1 src1_sel:DWORD
	v_fma_f16 v2, v20, v6, v2
	v_fma_f16 v1, v20, v1, -v5
	v_pack_b32_f16 v1, v2, v1
	v_add_u32_e32 v2, 0x800, v40
	ds_write2_b32 v2, v0, v1 offset0:32 offset1:112
.LBB0_3:
	s_or_b64 exec, exec, s[14:15]
	s_waitcnt lgkmcnt(0)
	s_barrier
	ds_read2_b32 v[0:1], v40 offset0:80 offset1:160
	ds_read2_b32 v[2:3], v3 offset0:112 offset1:192
	;; [unrolled: 1-line block ×3, first 2 shown]
	ds_read_b32 v15, v50
	ds_read_b32 v16, v40 offset:2240
	s_load_dwordx2 s[4:5], s[4:5], 0x8
                                        ; implicit-def: $vgpr4
                                        ; implicit-def: $vgpr9
                                        ; implicit-def: $vgpr6
                                        ; implicit-def: $vgpr11
	s_and_saveexec_b64 s[0:1], vcc
	s_cbranch_execz .LBB0_5
; %bb.4:
	v_add_u32_e32 v6, 0x200, v40
	v_add_u32_e32 v9, 0x400, v40
	;; [unrolled: 1-line block ×3, first 2 shown]
	ds_read2_b32 v[4:5], v40 offset0:64 offset1:144
	ds_read2_b32 v[6:7], v6 offset0:96 offset1:176
	;; [unrolled: 1-line block ×4, first 2 shown]
.LBB0_5:
	s_or_b64 exec, exec, s[0:1]
	s_waitcnt lgkmcnt(0)
	v_pk_add_f16 v17, v15, v3 neg_lo:[0,1] neg_hi:[0,1]
	v_pk_add_f16 v14, v1, v14 neg_lo:[0,1] neg_hi:[0,1]
	;; [unrolled: 1-line block ×4, first 2 shown]
	v_sub_f16_sdwa v3, v17, v14 dst_sel:DWORD dst_unused:UNUSED_PAD src0_sel:DWORD src1_sel:WORD_1
	v_lshrrev_b32_e32 v18, 16, v17
	v_sub_f16_sdwa v21, v13, v16 dst_sel:DWORD dst_unused:UNUSED_PAD src0_sel:DWORD src1_sel:WORD_1
	v_lshrrev_b32_e32 v22, 16, v13
	v_add_f16_e32 v19, v18, v14
	v_fma_f16 v20, v17, 2.0, -v3
	v_add_f16_e32 v26, v22, v16
	v_fma_f16 v27, v13, 2.0, -v21
	s_mov_b32 s0, 0xb9a8
	v_fma_f16 v18, v18, 2.0, -v19
	v_fma_f16 v22, v22, 2.0, -v26
	v_fma_f16 v28, v27, s0, v20
	s_movk_i32 s1, 0x39a8
	v_fma_f16 v29, v22, s0, v18
	v_fma_f16 v31, v22, s0, v28
	;; [unrolled: 1-line block ×6, first 2 shown]
	v_pk_add_f16 v22, v4, v9 neg_lo:[0,1] neg_hi:[0,1]
	v_pk_fma_f16 v15, v15, 2.0, v17 op_sel_hi:[1,0,1] neg_lo:[0,0,1] neg_hi:[0,0,1]
	v_pk_fma_f16 v1, v1, 2.0, v14 op_sel_hi:[1,0,1] neg_lo:[0,0,1] neg_hi:[0,0,1]
	;; [unrolled: 1-line block ×4, first 2 shown]
	v_pk_add_f16 v11, v6, v11 neg_lo:[0,1] neg_hi:[0,1]
	v_pk_add_f16 v10, v5, v10 neg_lo:[0,1] neg_hi:[0,1]
	v_lshrrev_b32_e32 v9, 16, v22
	v_pk_add_f16 v1, v15, v1 neg_lo:[0,1] neg_hi:[0,1]
	v_pk_add_f16 v2, v0, v2 neg_lo:[0,1] neg_hi:[0,1]
	;; [unrolled: 1-line block ×3, first 2 shown]
	v_sub_f16_sdwa v33, v22, v11 dst_sel:DWORD dst_unused:UNUSED_PAD src0_sel:DWORD src1_sel:WORD_1
	v_add_f16_e32 v38, v11, v9
	v_pk_fma_f16 v4, v4, 2.0, v22 op_sel_hi:[1,0,1] neg_lo:[0,0,1] neg_hi:[0,0,1]
	v_pk_fma_f16 v6, v6, 2.0, v11 op_sel_hi:[1,0,1] neg_lo:[0,0,1] neg_hi:[0,0,1]
	v_lshrrev_b32_e32 v11, 16, v10
	v_sub_f16_sdwa v14, v1, v2 dst_sel:DWORD dst_unused:UNUSED_PAD src0_sel:DWORD src1_sel:WORD_1
	v_pk_fma_f16 v5, v5, 2.0, v10 op_sel_hi:[1,0,1] neg_lo:[0,0,1] neg_hi:[0,0,1]
	v_pk_fma_f16 v7, v7, 2.0, v12 op_sel_hi:[1,0,1] neg_lo:[0,0,1] neg_hi:[0,0,1]
	v_pk_add_f16 v6, v4, v6 neg_lo:[0,1] neg_hi:[0,1]
	v_sub_f16_sdwa v35, v10, v12 dst_sel:DWORD dst_unused:UNUSED_PAD src0_sel:DWORD src1_sel:WORD_1
	v_add_f16_e32 v53, v12, v11
	v_lshrrev_b32_e32 v12, 16, v1
	v_fma_f16 v16, v1, 2.0, -v14
	v_pk_fma_f16 v1, v15, 2.0, v1 op_sel_hi:[1,0,1] neg_lo:[0,0,1] neg_hi:[0,0,1]
	v_pk_fma_f16 v0, v0, 2.0, v2 op_sel_hi:[1,0,1] neg_lo:[0,0,1] neg_hi:[0,0,1]
	v_pk_add_f16 v7, v5, v7 neg_lo:[0,1] neg_hi:[0,1]
	v_add_f16_e32 v17, v12, v2
	v_pk_add_f16 v30, v1, v0 neg_lo:[0,1] neg_hi:[0,1]
	v_lshrrev_b32_e32 v0, 16, v6
	v_fma_f16 v9, v9, 2.0, -v38
	v_pk_fma_f16 v4, v4, 2.0, v6 op_sel_hi:[1,0,1] neg_lo:[0,0,1] neg_hi:[0,0,1]
	v_pk_fma_f16 v5, v5, 2.0, v7 op_sel_hi:[1,0,1] neg_lo:[0,0,1] neg_hi:[0,0,1]
	v_fma_f16 v11, v11, 2.0, -v53
	v_fma_f16 v12, v12, 2.0, -v17
	v_add_f16_e32 v37, v7, v0
	v_fma_f16 v32, v21, s1, v27
	v_fma_f16 v21, v3, 2.0, -v26
	v_fma_f16 v3, v22, 2.0, -v33
	;; [unrolled: 1-line block ×3, first 2 shown]
	v_pack_b32_f16 v12, v16, v12
	v_pk_add_f16 v16, v4, v5 neg_lo:[0,1] neg_hi:[0,1]
	v_fma_f16 v5, v11, s0, v9
	v_fma_f16 v22, v0, 2.0, -v37
	v_fma_f16 v0, v35, s1, v33
	v_fma_f16 v36, v10, s1, v5
	;; [unrolled: 1-line block ×5, first 2 shown]
	v_fma_f16 v20, v20, 2.0, -v31
	v_fma_f16 v18, v18, 2.0, -v39
	;; [unrolled: 1-line block ×3, first 2 shown]
	v_fma_f16 v27, v11, s0, v5
	v_lshlrev_b32_e32 v5, 3, v47
	v_sub_f16_sdwa v28, v6, v7 dst_sel:DWORD dst_unused:UNUSED_PAD src0_sel:DWORD src1_sel:WORD_1
	v_fma_f16 v35, v35, s1, v0
	v_pack_b32_f16 v13, v21, v19
	v_add_lshl_u32 v52, v51, v5, 2
	v_pack_b32_f16 v11, v20, v18
	v_pk_fma_f16 v10, v1, 2.0, v30 op_sel_hi:[1,0,1] neg_lo:[0,0,1] neg_hi:[0,0,1]
	v_fma_f16 v20, v6, 2.0, -v28
	v_fma_f16 v21, v33, 2.0, -v29
	;; [unrolled: 1-line block ×3, first 2 shown]
	v_pack_b32_f16 v33, v26, v32
	v_pack_b32_f16 v32, v14, v17
	;; [unrolled: 1-line block ×3, first 2 shown]
	v_lshlrev_b32_e32 v53, 3, v8
	s_barrier
	ds_write_b128 v52, v[10:13]
	ds_write_b128 v52, v[30:33] offset:16
	s_and_saveexec_b64 s[0:1], vcc
	s_cbranch_execz .LBB0_7
; %bb.6:
	v_fma_f16 v1, v3, 2.0, -v27
	v_fma_f16 v2, v9, 2.0, -v36
	s_mov_b32 s12, 0x5040100
	v_add_lshl_u32 v5, v51, v53, 2
	v_pk_fma_f16 v0, v4, 2.0, v16 op_sel_hi:[1,0,1] neg_lo:[0,0,1] neg_hi:[0,0,1]
	v_pack_b32_f16 v1, v1, v2
	v_perm_b32 v3, v38, v21, s12
	v_perm_b32 v2, v22, v20, s12
	;; [unrolled: 1-line block ×5, first 2 shown]
	ds_write_b128 v5, v[0:3]
	ds_write_b128 v5, v[16:19] offset:16
.LBB0_7:
	s_or_b64 exec, exec, s[0:1]
	v_and_b32_e32 v15, 7, v47
	v_mad_u64_u32 v[9:10], s[0:1], v15, 36, s[4:5]
	s_waitcnt lgkmcnt(0)
	s_barrier
	global_load_dwordx4 v[0:3], v[9:10], off
	global_load_dwordx4 v[4:7], v[9:10], off offset:16
	global_load_dword v54, v[9:10], off offset:32
	ds_read_b32 v19, v50
	ds_read2st64_b32 v[9:10], v40 offset0:1 offset1:2
	ds_read2st64_b32 v[11:12], v40 offset0:3 offset1:4
	;; [unrolled: 1-line block ×4, first 2 shown]
	ds_read_b32 v26, v40 offset:2304
	s_waitcnt lgkmcnt(4)
	v_lshrrev_b32_e32 v32, 16, v10
	s_waitcnt lgkmcnt(3)
	v_lshrrev_b32_e32 v39, 16, v12
	;; [unrolled: 2-line block ×4, first 2 shown]
	v_lshrrev_b32_e32 v31, 16, v9
	v_lshrrev_b32_e32 v33, 16, v11
	s_movk_i32 s13, 0x3b9c
	s_mov_b32 s1, 0xbb9c
	s_movk_i32 s14, 0x38b4
	s_mov_b32 s0, 0xb8b4
	v_lshrrev_b32_e32 v30, 16, v19
	v_lshrrev_b32_e32 v55, 16, v13
	s_movk_i32 s12, 0x34f2
	v_lshrrev_b32_e32 v57, 16, v17
	s_waitcnt lgkmcnt(0)
	v_lshrrev_b32_e32 v59, 16, v26
	s_movk_i32 s15, 0x3a79
	s_waitcnt vmcnt(0)
	s_barrier
	v_mul_f16_sdwa v66, v39, v3 dst_sel:DWORD dst_unused:UNUSED_PAD src0_sel:DWORD src1_sel:WORD_1
	v_mul_f16_sdwa v70, v56, v5 dst_sel:DWORD dst_unused:UNUSED_PAD src0_sel:DWORD src1_sel:WORD_1
	;; [unrolled: 1-line block ×9, first 2 shown]
	v_fma_f16 v12, v12, v3, -v66
	v_fma_f16 v14, v14, v5, -v70
	v_mul_f16_sdwa v60, v31, v0 dst_sel:DWORD dst_unused:UNUSED_PAD src0_sel:DWORD src1_sel:WORD_1
	v_fma_f16 v10, v10, v1, -v62
	v_fma_f16 v31, v31, v0, v61
	v_fma_f16 v32, v32, v1, v63
	v_fma_f16 v18, v18, v7, -v74
	v_fma_f16 v58, v58, v7, v75
	v_add_f16_e32 v61, v12, v14
	v_mul_f16_sdwa v64, v33, v2 dst_sel:DWORD dst_unused:UNUSED_PAD src0_sel:DWORD src1_sel:WORD_1
	v_mul_f16_sdwa v65, v11, v2 dst_sel:DWORD dst_unused:UNUSED_PAD src0_sel:DWORD src1_sel:WORD_1
	v_fma_f16 v39, v39, v3, v67
	v_fma_f16 v56, v56, v5, v71
	v_sub_f16_e32 v62, v32, v58
	v_add_f16_e32 v66, v10, v18
	v_fma_f16 v61, v61, -0.5, v19
	v_fma_f16 v9, v9, v0, -v60
	v_fma_f16 v11, v11, v2, -v64
	v_fma_f16 v33, v33, v2, v65
	v_add_f16_e32 v60, v19, v10
	v_sub_f16_e32 v63, v39, v56
	v_sub_f16_e32 v64, v10, v12
	v_sub_f16_e32 v65, v18, v14
	v_fma_f16 v19, v66, -0.5, v19
	v_fma_f16 v66, v62, s13, v61
	v_fma_f16 v61, v62, s1, v61
	v_mul_f16_sdwa v68, v55, v4 dst_sel:DWORD dst_unused:UNUSED_PAD src0_sel:DWORD src1_sel:WORD_1
	v_add_f16_e32 v64, v64, v65
	v_fma_f16 v66, v63, s14, v66
	v_fma_f16 v61, v63, s0, v61
	v_mul_f16_sdwa v69, v13, v4 dst_sel:DWORD dst_unused:UNUSED_PAD src0_sel:DWORD src1_sel:WORD_1
	v_fma_f16 v13, v13, v4, -v68
	v_sub_f16_e32 v67, v12, v10
	v_sub_f16_e32 v68, v14, v18
	v_add_f16_e32 v60, v60, v12
	v_fma_f16 v66, v64, s12, v66
	v_fma_f16 v61, v64, s12, v61
	v_add_f16_e32 v64, v39, v56
	v_add_f16_e32 v65, v67, v68
	;; [unrolled: 1-line block ×3, first 2 shown]
	v_fma_f16 v67, v63, s1, v19
	v_fma_f16 v19, v63, s13, v19
	v_fma_f16 v64, v64, -0.5, v30
	v_sub_f16_e32 v10, v10, v18
	v_add_f16_e32 v60, v60, v18
	v_fma_f16 v63, v62, s14, v67
	v_fma_f16 v19, v62, s0, v19
	;; [unrolled: 1-line block ×3, first 2 shown]
	v_sub_f16_e32 v12, v12, v14
	v_fma_f16 v63, v65, s12, v63
	v_fma_f16 v19, v65, s12, v19
	;; [unrolled: 1-line block ×3, first 2 shown]
	v_sub_f16_e32 v18, v32, v39
	v_sub_f16_e32 v65, v58, v56
	v_fma_f16 v64, v10, s13, v64
	v_add_f16_e32 v18, v18, v65
	v_fma_f16 v64, v12, s14, v64
	v_fma_f16 v14, v18, s12, v14
	;; [unrolled: 1-line block ×3, first 2 shown]
	v_add_f16_e32 v64, v32, v58
	v_mul_f16_sdwa v72, v57, v6 dst_sel:DWORD dst_unused:UNUSED_PAD src0_sel:DWORD src1_sel:WORD_1
	v_add_f16_e32 v62, v30, v32
	v_fma_f16 v30, v64, -0.5, v30
	v_mul_f16_sdwa v73, v17, v6 dst_sel:DWORD dst_unused:UNUSED_PAD src0_sel:DWORD src1_sel:WORD_1
	v_mul_f16_sdwa v77, v26, v54 dst_sel:DWORD dst_unused:UNUSED_PAD src0_sel:DWORD src1_sel:WORD_1
	v_fma_f16 v17, v17, v6, -v72
	v_add_f16_e32 v62, v62, v39
	v_fma_f16 v64, v12, s13, v30
	v_sub_f16_e32 v32, v39, v32
	v_sub_f16_e32 v39, v56, v58
	v_fma_f16 v12, v12, s1, v30
	v_mul_f16_sdwa v76, v59, v54 dst_sel:DWORD dst_unused:UNUSED_PAD src0_sel:DWORD src1_sel:WORD_1
	v_fma_f16 v59, v59, v54, v77
	v_fma_f16 v64, v10, s0, v64
	v_add_f16_e32 v32, v32, v39
	v_fma_f16 v10, v10, s14, v12
	v_add_f16_e32 v30, v13, v17
	v_fma_f16 v55, v55, v4, v69
	v_fma_f16 v57, v57, v6, v73
	v_fma_f16 v26, v26, v54, -v76
	v_add_f16_e32 v62, v62, v56
	v_fma_f16 v39, v32, s12, v64
	v_fma_f16 v10, v32, s12, v10
	v_fma_f16 v30, v30, -0.5, v9
	v_sub_f16_e32 v32, v33, v59
	v_add_f16_e32 v62, v62, v58
	v_fma_f16 v56, v32, s13, v30
	v_sub_f16_e32 v58, v55, v57
	v_sub_f16_e32 v64, v11, v13
	v_sub_f16_e32 v65, v26, v17
	v_fma_f16 v30, v32, s1, v30
	v_fma_f16 v56, v58, s14, v56
	v_add_f16_e32 v64, v64, v65
	v_fma_f16 v30, v58, s0, v30
	v_fma_f16 v56, v64, s12, v56
	;; [unrolled: 1-line block ×3, first 2 shown]
	v_add_f16_e32 v64, v11, v26
	v_add_f16_e32 v12, v9, v11
	v_fma_f16 v9, v64, -0.5, v9
	v_add_f16_e32 v12, v12, v13
	v_fma_f16 v64, v58, s1, v9
	v_fma_f16 v9, v58, s13, v9
	v_add_f16_e32 v58, v55, v57
	v_add_f16_e32 v12, v12, v17
	v_sub_f16_e32 v65, v13, v11
	v_sub_f16_e32 v67, v17, v26
	v_fma_f16 v58, v58, -0.5, v31
	v_sub_f16_e32 v11, v11, v26
	v_add_f16_e32 v12, v12, v26
	v_fma_f16 v64, v32, s14, v64
	v_add_f16_e32 v65, v65, v67
	v_fma_f16 v9, v32, s0, v9
	v_fma_f16 v26, v11, s1, v58
	v_sub_f16_e32 v13, v13, v17
	v_fma_f16 v64, v65, s12, v64
	v_fma_f16 v9, v65, s12, v9
	;; [unrolled: 1-line block ×3, first 2 shown]
	v_sub_f16_e32 v26, v33, v55
	v_sub_f16_e32 v65, v59, v57
	v_fma_f16 v58, v11, s13, v58
	v_add_f16_e32 v26, v26, v65
	v_fma_f16 v58, v13, s14, v58
	v_fma_f16 v17, v26, s12, v17
	;; [unrolled: 1-line block ×3, first 2 shown]
	v_add_f16_e32 v58, v33, v59
	v_add_f16_e32 v32, v31, v33
	v_fma_f16 v31, v58, -0.5, v31
	v_add_f16_e32 v32, v32, v55
	v_fma_f16 v58, v13, s13, v31
	v_sub_f16_e32 v33, v55, v33
	v_sub_f16_e32 v55, v57, v59
	v_fma_f16 v13, v13, s1, v31
	v_add_f16_e32 v32, v32, v57
	v_fma_f16 v58, v11, s0, v58
	v_add_f16_e32 v33, v33, v55
	;; [unrolled: 2-line block ×3, first 2 shown]
	v_fma_f16 v11, v33, s12, v11
	v_mul_f16_e32 v31, 0x38b4, v17
	v_mul_f16_e32 v59, 0x34f2, v9
	v_fma_f16 v31, v56, s15, v31
	v_fma_f16 v59, v11, s13, -v59
	v_mul_f16_e32 v56, 0xb8b4, v56
	v_mul_f16_e32 v11, 0x34f2, v11
	v_fma_f16 v55, v33, s12, v58
	v_fma_f16 v17, v17, s15, v56
	v_mul_f16_e32 v56, 0xbb9c, v64
	v_fma_f16 v9, v9, s1, -v11
	v_mul_f16_e32 v57, 0x3b9c, v55
	v_fma_f16 v55, v55, s12, v56
	v_add_f16_e32 v11, v10, v9
	v_sub_f16_e32 v56, v10, v9
	v_lshrrev_b32_e32 v9, 3, v47
	v_mul_f16_e32 v67, 0x3a79, v30
	v_mul_u32_u24_e32 v9, 0x50, v9
	v_add_f16_e32 v13, v60, v12
	v_add_f16_e32 v33, v66, v31
	v_fma_f16 v57, v64, s12, v57
	v_fma_f16 v67, v26, s14, -v67
	v_add_f16_e32 v69, v62, v32
	v_add_f16_e32 v70, v14, v17
	v_mul_f16_e32 v26, 0x3a79, v26
	v_or_b32_e32 v9, v9, v15
	v_add_f16_e32 v58, v63, v57
	v_add_f16_e32 v65, v19, v59
	;; [unrolled: 1-line block ×3, first 2 shown]
	v_fma_f16 v26, v30, s0, -v26
	v_sub_f16_e32 v14, v14, v17
	v_sub_f16_e32 v17, v39, v55
	v_add_lshl_u32 v55, v51, v9, 2
	v_pack_b32_f16 v9, v13, v69
	v_pack_b32_f16 v10, v33, v70
	v_add_f16_e32 v68, v61, v67
	v_add_f16_e32 v71, v18, v26
	v_sub_f16_e32 v12, v60, v12
	v_sub_f16_e32 v30, v19, v59
	v_sub_f16_e32 v19, v62, v32
	ds_write2_b32 v55, v9, v10 offset1:8
	v_pack_b32_f16 v9, v58, v64
	v_pack_b32_f16 v10, v65, v11
	v_sub_f16_e32 v60, v66, v31
	v_sub_f16_e32 v57, v63, v57
	ds_write2_b32 v55, v9, v10 offset0:16 offset1:24
	v_pack_b32_f16 v9, v68, v71
	v_pack_b32_f16 v10, v12, v19
	v_sub_f16_e32 v31, v61, v67
	v_sub_f16_e32 v59, v18, v26
	ds_write2_b32 v55, v9, v10 offset0:32 offset1:40
	v_pack_b32_f16 v9, v60, v14
	v_pack_b32_f16 v10, v57, v17
	ds_write2_b32 v55, v9, v10 offset0:48 offset1:56
	v_pack_b32_f16 v9, v30, v56
	v_pack_b32_f16 v10, v31, v59
	v_add_u32_e32 v39, 0x200, v40
	v_add_u32_e32 v58, 0x400, v40
	ds_write2_b32 v55, v9, v10 offset0:64 offset1:72
	s_waitcnt lgkmcnt(0)
	s_barrier
	ds_read2_b32 v[32:33], v40 offset0:80 offset1:160
	ds_read2_b32 v[17:18], v39 offset0:112 offset1:192
	;; [unrolled: 1-line block ×3, first 2 shown]
	ds_read_b32 v57, v50
	ds_read_b32 v11, v40 offset:2240
	s_and_saveexec_b64 s[0:1], vcc
	s_cbranch_execz .LBB0_9
; %bb.8:
	v_add_u32_e32 v12, 0x800, v40
	ds_read2_b32 v[30:31], v40 offset0:64 offset1:144
	ds_read2_b32 v[20:21], v39 offset0:96 offset1:176
	;; [unrolled: 1-line block ×4, first 2 shown]
	s_waitcnt lgkmcnt(3)
	v_lshrrev_b32_e32 v56, 16, v30
	v_lshrrev_b32_e32 v59, 16, v31
	s_waitcnt lgkmcnt(2)
	v_lshrrev_b32_e32 v22, 16, v20
	v_lshrrev_b32_e32 v38, 16, v21
	s_waitcnt lgkmcnt(1)
	v_lshrrev_b32_e32 v36, 16, v27
	s_waitcnt lgkmcnt(0)
	v_lshrrev_b32_e32 v37, 16, v28
	v_lshrrev_b32_e32 v35, 16, v29
	v_mov_b32_e32 v16, v26
.LBB0_9:
	s_or_b64 exec, exec, s[0:1]
	v_mad_u64_u32 v[60:61], s[0:1], v47, 28, s[4:5]
	s_waitcnt lgkmcnt(4)
	v_lshrrev_b32_e32 v19, 16, v32
	v_lshrrev_b32_e32 v62, 16, v33
	global_load_dwordx4 v[12:15], v[60:61], off offset:288
	s_waitcnt lgkmcnt(3)
	v_lshrrev_b32_e32 v63, 16, v17
	v_lshrrev_b32_e32 v64, 16, v18
	s_waitcnt lgkmcnt(2)
	v_lshrrev_b32_e32 v65, 16, v9
	v_lshrrev_b32_e32 v66, 16, v10
	;; [unrolled: 3-line block ×3, first 2 shown]
	s_waitcnt vmcnt(0)
	v_mul_f16_sdwa v68, v19, v12 dst_sel:DWORD dst_unused:UNUSED_PAD src0_sel:DWORD src1_sel:WORD_1
	v_fma_f16 v68, v32, v12, -v68
	v_mul_f16_sdwa v32, v32, v12 dst_sel:DWORD dst_unused:UNUSED_PAD src0_sel:DWORD src1_sel:WORD_1
	v_fma_f16 v69, v19, v12, v32
	v_mul_f16_sdwa v19, v62, v13 dst_sel:DWORD dst_unused:UNUSED_PAD src0_sel:DWORD src1_sel:WORD_1
	v_fma_f16 v70, v33, v13, -v19
	v_mul_f16_sdwa v19, v33, v13 dst_sel:DWORD dst_unused:UNUSED_PAD src0_sel:DWORD src1_sel:WORD_1
	v_fma_f16 v62, v62, v13, v19
	;; [unrolled: 4-line block ×4, first 2 shown]
	global_load_dwordx3 v[17:19], v[60:61], off offset:304
	s_waitcnt vmcnt(0)
	v_mul_f16_sdwa v32, v65, v17 dst_sel:DWORD dst_unused:UNUSED_PAD src0_sel:DWORD src1_sel:WORD_1
	v_fma_f16 v60, v9, v17, -v32
	v_mul_f16_sdwa v9, v9, v17 dst_sel:DWORD dst_unused:UNUSED_PAD src0_sel:DWORD src1_sel:WORD_1
	v_fma_f16 v61, v65, v17, v9
	v_mul_f16_sdwa v9, v66, v18 dst_sel:DWORD dst_unused:UNUSED_PAD src0_sel:DWORD src1_sel:WORD_1
	v_fma_f16 v65, v10, v18, -v9
	v_mul_f16_sdwa v9, v10, v18 dst_sel:DWORD dst_unused:UNUSED_PAD src0_sel:DWORD src1_sel:WORD_1
	v_fma_f16 v66, v66, v18, v9
	v_mul_f16_sdwa v9, v67, v19 dst_sel:DWORD dst_unused:UNUSED_PAD src0_sel:DWORD src1_sel:WORD_1
	v_fma_f16 v73, v11, v19, -v9
	v_mul_f16_sdwa v9, v11, v19 dst_sel:DWORD dst_unused:UNUSED_PAD src0_sel:DWORD src1_sel:WORD_1
	v_fma_f16 v67, v67, v19, v9
	v_add_u32_e32 v9, -16, v47
	v_cndmask_b32_e32 v8, v9, v8, vcc
	v_mul_hi_i32_i24_e32 v9, 28, v8
	v_mul_i32_i24_e32 v8, 28, v8
	v_add_co_u32_e64 v32, s[0:1], s4, v8
	v_mov_b32_e32 v8, s5
	v_addc_co_u32_e64 v33, s[0:1], v8, v9, s[0:1]
	global_load_dwordx4 v[8:11], v[32:33], off offset:288
	v_sub_f16_e32 v61, v69, v61
	v_sub_f16_e32 v67, v63, v67
	;; [unrolled: 1-line block ×3, first 2 shown]
	v_fma_f16 v69, v69, 2.0, -v61
	v_fma_f16 v63, v63, 2.0, -v67
	;; [unrolled: 1-line block ×3, first 2 shown]
	v_sub_f16_e32 v63, v69, v63
	v_fma_f16 v69, v69, 2.0, -v63
	v_sub_f16_e32 v67, v60, v67
	v_fma_f16 v60, v60, 2.0, -v67
	s_mov_b32 s0, 0xb9a8
	s_movk_i32 s1, 0x39a8
	s_waitcnt vmcnt(0)
	v_mul_f16_sdwa v74, v59, v8 dst_sel:DWORD dst_unused:UNUSED_PAD src0_sel:DWORD src1_sel:WORD_1
	v_fma_f16 v74, v31, v8, -v74
	v_mul_f16_sdwa v31, v31, v8 dst_sel:DWORD dst_unused:UNUSED_PAD src0_sel:DWORD src1_sel:WORD_1
	v_fma_f16 v31, v59, v8, v31
	v_mul_f16_sdwa v59, v22, v9 dst_sel:DWORD dst_unused:UNUSED_PAD src0_sel:DWORD src1_sel:WORD_1
	v_fma_f16 v59, v20, v9, -v59
	v_mul_f16_sdwa v20, v20, v9 dst_sel:DWORD dst_unused:UNUSED_PAD src0_sel:DWORD src1_sel:WORD_1
	v_fma_f16 v75, v22, v9, v20
	v_mul_f16_sdwa v20, v38, v10 dst_sel:DWORD dst_unused:UNUSED_PAD src0_sel:DWORD src1_sel:WORD_1
	v_fma_f16 v76, v21, v10, -v20
	v_mul_f16_sdwa v20, v21, v10 dst_sel:DWORD dst_unused:UNUSED_PAD src0_sel:DWORD src1_sel:WORD_1
	v_fma_f16 v38, v38, v10, v20
	v_lshrrev_b32_e32 v20, 16, v16
	v_mul_f16_sdwa v21, v20, v11 dst_sel:DWORD dst_unused:UNUSED_PAD src0_sel:DWORD src1_sel:WORD_1
	v_fma_f16 v77, v16, v11, -v21
	v_mul_f16_sdwa v16, v16, v11 dst_sel:DWORD dst_unused:UNUSED_PAD src0_sel:DWORD src1_sel:WORD_1
	v_fma_f16 v16, v20, v11, v16
	global_load_dwordx3 v[20:22], v[32:33], off offset:304
	v_sub_f16_e32 v16, v56, v16
	v_fma_f16 v56, v56, 2.0, -v16
	s_waitcnt vmcnt(0)
	v_mul_f16_sdwa v32, v36, v20 dst_sel:DWORD dst_unused:UNUSED_PAD src0_sel:DWORD src1_sel:WORD_1
	v_fma_f16 v32, v27, v20, -v32
	v_mul_f16_sdwa v27, v27, v20 dst_sel:DWORD dst_unused:UNUSED_PAD src0_sel:DWORD src1_sel:WORD_1
	v_mul_f16_sdwa v33, v37, v21 dst_sel:DWORD dst_unused:UNUSED_PAD src0_sel:DWORD src1_sel:WORD_1
	v_fma_f16 v27, v36, v20, v27
	v_fma_f16 v33, v28, v21, -v33
	v_mul_f16_sdwa v28, v28, v21 dst_sel:DWORD dst_unused:UNUSED_PAD src0_sel:DWORD src1_sel:WORD_1
	v_mul_f16_sdwa v36, v35, v22 dst_sel:DWORD dst_unused:UNUSED_PAD src0_sel:DWORD src1_sel:WORD_1
	v_fma_f16 v28, v37, v21, v28
	v_fma_f16 v36, v29, v22, -v36
	v_mul_f16_sdwa v29, v29, v22 dst_sel:DWORD dst_unused:UNUSED_PAD src0_sel:DWORD src1_sel:WORD_1
	v_sub_f16_e32 v37, v26, v64
	v_sub_f16_e32 v64, v70, v65
	;; [unrolled: 1-line block ×3, first 2 shown]
	v_fma_f16 v29, v35, v22, v29
	v_sub_f16_e32 v35, v57, v72
	v_fma_f16 v26, v26, 2.0, -v37
	v_fma_f16 v66, v70, 2.0, -v64
	;; [unrolled: 1-line block ×3, first 2 shown]
	v_sub_f16_e32 v70, v71, v73
	v_fma_f16 v57, v57, 2.0, -v35
	v_fma_f16 v71, v71, 2.0, -v70
	v_sub_f16_e32 v62, v26, v62
	v_sub_f16_e32 v66, v57, v66
	v_fma_f16 v26, v26, 2.0, -v62
	v_sub_f16_e32 v65, v35, v65
	v_sub_f16_e32 v71, v68, v71
	v_fma_f16 v57, v57, 2.0, -v66
	v_add_f16_e32 v64, v37, v64
	v_fma_f16 v35, v35, 2.0, -v65
	v_fma_f16 v68, v68, 2.0, -v71
	v_add_f16_e32 v70, v61, v70
	v_sub_f16_e32 v69, v26, v69
	v_fma_f16 v37, v37, 2.0, -v64
	v_fma_f16 v61, v61, 2.0, -v70
	v_sub_f16_e32 v68, v57, v68
	v_fma_f16 v73, v26, 2.0, -v69
	v_fma_f16 v26, v60, s0, v35
	v_fma_f16 v72, v57, 2.0, -v68
	v_fma_f16 v57, v61, s0, v37
	v_fma_f16 v78, v61, s0, v26
	;; [unrolled: 1-line block ×3, first 2 shown]
	v_sub_f16_e32 v32, v74, v32
	v_sub_f16_e32 v36, v76, v36
	v_fma_f16 v79, v60, s1, v57
	v_fma_f16 v57, v70, s1, v64
	;; [unrolled: 1-line block ×3, first 2 shown]
	v_sub_f16_e32 v26, v30, v77
	v_sub_f16_e32 v33, v59, v33
	v_sub_f16_e32 v28, v75, v28
	v_fma_f16 v60, v74, 2.0, -v32
	v_fma_f16 v61, v76, 2.0, -v36
	v_fma_f16 v67, v67, s1, v57
	v_fma_f16 v30, v30, 2.0, -v26
	v_fma_f16 v57, v59, 2.0, -v33
	;; [unrolled: 1-line block ×3, first 2 shown]
	v_sub_f16_e32 v27, v31, v27
	v_sub_f16_e32 v29, v38, v29
	;; [unrolled: 1-line block ×5, first 2 shown]
	v_fma_f16 v31, v31, 2.0, -v27
	v_fma_f16 v38, v38, 2.0, -v29
	v_sub_f16_e32 v63, v30, v57
	v_add_f16_e32 v76, v16, v33
	v_fma_f16 v33, v26, 2.0, -v75
	v_fma_f16 v26, v60, 2.0, -v61
	v_sub_f16_e32 v60, v32, v29
	v_sub_f16_e32 v74, v56, v59
	v_fma_f16 v30, v30, 2.0, -v63
	v_sub_f16_e32 v38, v31, v38
	v_add_f16_e32 v36, v27, v36
	v_fma_f16 v32, v32, 2.0, -v60
	v_fma_f16 v56, v56, 2.0, -v74
	;; [unrolled: 1-line block ×5, first 2 shown]
	v_sub_f16_e32 v28, v30, v26
	v_fma_f16 v29, v32, s0, v33
	v_add_f16_e32 v71, v62, v71
	v_sub_f16_e32 v59, v56, v31
	v_fma_f16 v26, v30, 2.0, -v28
	v_fma_f16 v30, v27, s0, v16
	v_fma_f16 v29, v27, s0, v29
	;; [unrolled: 1-line block ×3, first 2 shown]
	v_fma_f16 v35, v35, 2.0, -v78
	v_fma_f16 v37, v37, 2.0, -v79
	;; [unrolled: 1-line block ×4, first 2 shown]
	v_fma_f16 v57, v32, s1, v30
	v_fma_f16 v27, v33, 2.0, -v29
	v_sub_f16_e32 v32, v63, v38
	v_fma_f16 v38, v36, s1, v76
	v_fma_f16 v33, v36, s0, v31
	v_pack_b32_f16 v36, v72, v73
	v_fma_f16 v65, v65, 2.0, -v70
	v_fma_f16 v64, v64, 2.0, -v67
	ds_write_b32 v50, v36
	v_pack_b32_f16 v35, v35, v37
	v_pack_b32_f16 v36, v66, v81
	ds_write2_b32 v40, v35, v36 offset0:80 offset1:160
	v_pack_b32_f16 v35, v65, v64
	v_pack_b32_f16 v36, v68, v69
	v_add_f16_e32 v62, v74, v61
	v_fma_f16 v30, v63, 2.0, -v32
	v_fma_f16 v63, v60, s1, v38
	ds_write2_b32 v39, v35, v36 offset0:112 offset1:192
	v_pack_b32_f16 v35, v78, v79
	v_pack_b32_f16 v36, v80, v71
	v_fma_f16 v56, v56, 2.0, -v59
	v_fma_f16 v16, v16, 2.0, -v57
	;; [unrolled: 1-line block ×5, first 2 shown]
	ds_write2_b32 v58, v35, v36 offset0:144 offset1:224
	v_pack_b32_f16 v35, v70, v67
	ds_write_b32 v40, v35 offset:2240
	s_and_saveexec_b64 s[0:1], vcc
	s_cbranch_execz .LBB0_11
; %bb.10:
	s_mov_b32 s4, 0x5040100
	v_perm_b32 v35, v56, v26, s4
	v_perm_b32 v36, v16, v27, s4
	ds_write2_b32 v40, v35, v36 offset0:64 offset1:144
	v_perm_b32 v35, v61, v30, s4
	v_perm_b32 v36, v60, v31, s4
	v_add_u32_e32 v37, 0x200, v40
	ds_write2_b32 v37, v35, v36 offset0:96 offset1:176
	v_perm_b32 v35, v59, v28, s4
	v_perm_b32 v36, v57, v29, s4
	v_add_u32_e32 v37, 0x400, v40
	;; [unrolled: 4-line block ×3, first 2 shown]
	ds_write2_b32 v37, v35, v36 offset0:32 offset1:112
.LBB0_11:
	s_or_b64 exec, exec, s[0:1]
	s_waitcnt lgkmcnt(0)
	s_barrier
	global_load_dword v37, v[23:24], off offset:2560
	ds_read_b32 v35, v50
	s_add_u32 s2, s2, 0xa00
	s_addc_u32 s3, s3, 0
	s_waitcnt lgkmcnt(0)
	v_lshrrev_b32_e32 v36, 16, v35
	s_waitcnt vmcnt(0)
	v_mul_f16_sdwa v38, v36, v37 dst_sel:DWORD dst_unused:UNUSED_PAD src0_sel:DWORD src1_sel:WORD_1
	v_fma_f16 v38, v35, v37, -v38
	v_mul_f16_sdwa v35, v35, v37 dst_sel:DWORD dst_unused:UNUSED_PAD src0_sel:DWORD src1_sel:WORD_1
	v_fma_f16 v35, v36, v37, v35
	v_pack_b32_f16 v35, v38, v35
	global_load_dword v38, v34, s[2:3] offset:320
	ds_write_b32 v50, v35
	ds_read2_b32 v[35:36], v40 offset0:80 offset1:160
	s_waitcnt lgkmcnt(0)
	v_lshrrev_b32_e32 v37, 16, v35
	s_waitcnt vmcnt(0)
	v_mul_f16_sdwa v39, v37, v38 dst_sel:DWORD dst_unused:UNUSED_PAD src0_sel:DWORD src1_sel:WORD_1
	v_fma_f16 v39, v35, v38, -v39
	v_mul_f16_sdwa v35, v35, v38 dst_sel:DWORD dst_unused:UNUSED_PAD src0_sel:DWORD src1_sel:WORD_1
	v_fma_f16 v35, v37, v38, v35
	global_load_dword v38, v34, s[2:3] offset:640
	v_lshrrev_b32_e32 v37, 16, v36
	v_pack_b32_f16 v35, v39, v35
	s_waitcnt vmcnt(0)
	v_mul_f16_sdwa v39, v37, v38 dst_sel:DWORD dst_unused:UNUSED_PAD src0_sel:DWORD src1_sel:WORD_1
	v_fma_f16 v39, v36, v38, -v39
	v_mul_f16_sdwa v36, v36, v38 dst_sel:DWORD dst_unused:UNUSED_PAD src0_sel:DWORD src1_sel:WORD_1
	v_fma_f16 v36, v37, v38, v36
	v_pack_b32_f16 v36, v39, v36
	global_load_dword v39, v34, s[2:3] offset:960
	ds_write2_b32 v40, v35, v36 offset0:80 offset1:160
	v_add_u32_e32 v36, 0x200, v40
	ds_read2_b32 v[37:38], v36 offset0:112 offset1:192
	s_waitcnt lgkmcnt(0)
	v_lshrrev_b32_e32 v35, 16, v37
	s_waitcnt vmcnt(0)
	v_mul_f16_sdwa v58, v35, v39 dst_sel:DWORD dst_unused:UNUSED_PAD src0_sel:DWORD src1_sel:WORD_1
	v_fma_f16 v58, v37, v39, -v58
	v_mul_f16_sdwa v37, v37, v39 dst_sel:DWORD dst_unused:UNUSED_PAD src0_sel:DWORD src1_sel:WORD_1
	v_fma_f16 v35, v35, v39, v37
	global_load_dword v39, v34, s[2:3] offset:1280
	v_lshrrev_b32_e32 v37, 16, v38
	v_pack_b32_f16 v35, v58, v35
	s_waitcnt vmcnt(0)
	v_mul_f16_sdwa v58, v37, v39 dst_sel:DWORD dst_unused:UNUSED_PAD src0_sel:DWORD src1_sel:WORD_1
	v_fma_f16 v58, v38, v39, -v58
	v_mul_f16_sdwa v38, v38, v39 dst_sel:DWORD dst_unused:UNUSED_PAD src0_sel:DWORD src1_sel:WORD_1
	v_fma_f16 v37, v37, v39, v38
	v_pack_b32_f16 v37, v58, v37
	ds_write2_b32 v36, v35, v37 offset0:112 offset1:192
	global_load_dword v37, v34, s[2:3] offset:1600
	v_add_u32_e32 v38, 0x400, v40
	ds_read2_b32 v[64:65], v38 offset0:144 offset1:224
	s_waitcnt lgkmcnt(0)
	v_lshrrev_b32_e32 v35, 16, v64
	s_waitcnt vmcnt(0)
	v_mul_f16_sdwa v39, v35, v37 dst_sel:DWORD dst_unused:UNUSED_PAD src0_sel:DWORD src1_sel:WORD_1
	v_mul_f16_sdwa v58, v64, v37 dst_sel:DWORD dst_unused:UNUSED_PAD src0_sel:DWORD src1_sel:WORD_1
	v_fma_f16 v39, v64, v37, -v39
	v_fma_f16 v35, v35, v37, v58
	v_pack_b32_f16 v35, v39, v35
	global_load_dword v39, v34, s[2:3] offset:1920
	v_lshrrev_b32_e32 v37, 16, v65
	s_waitcnt vmcnt(0)
	v_mul_f16_sdwa v58, v37, v39 dst_sel:DWORD dst_unused:UNUSED_PAD src0_sel:DWORD src1_sel:WORD_1
	v_mul_f16_sdwa v64, v65, v39 dst_sel:DWORD dst_unused:UNUSED_PAD src0_sel:DWORD src1_sel:WORD_1
	v_fma_f16 v58, v65, v39, -v58
	v_fma_f16 v37, v37, v39, v64
	global_load_dword v39, v34, s[2:3] offset:2240
	v_pack_b32_f16 v37, v58, v37
	ds_write2_b32 v38, v35, v37 offset0:144 offset1:224
	ds_read_b32 v35, v40 offset:2240
	s_waitcnt lgkmcnt(0)
	v_lshrrev_b32_e32 v37, 16, v35
	s_waitcnt vmcnt(0)
	v_mul_f16_sdwa v58, v37, v39 dst_sel:DWORD dst_unused:UNUSED_PAD src0_sel:DWORD src1_sel:WORD_1
	v_fma_f16 v58, v35, v39, -v58
	v_mul_f16_sdwa v35, v35, v39 dst_sel:DWORD dst_unused:UNUSED_PAD src0_sel:DWORD src1_sel:WORD_1
	v_fma_f16 v35, v37, v39, v35
	v_pack_b32_f16 v35, v58, v35
	ds_write_b32 v40, v35 offset:2240
	s_and_saveexec_b64 s[4:5], vcc
	s_cbranch_execz .LBB0_13
; %bb.12:
	v_add_co_u32_e64 v34, s[0:1], s2, v34
	v_mov_b32_e32 v35, s3
	v_addc_co_u32_e64 v35, s[0:1], 0, v35, s[0:1]
	global_load_dword v39, v[34:35], off offset:256
	ds_read2_b32 v[64:65], v40 offset0:64 offset1:144
	s_waitcnt lgkmcnt(0)
	v_lshrrev_b32_e32 v37, 16, v64
	s_waitcnt vmcnt(0)
	v_mul_f16_sdwa v58, v37, v39 dst_sel:DWORD dst_unused:UNUSED_PAD src0_sel:DWORD src1_sel:WORD_1
	v_fma_f16 v58, v64, v39, -v58
	v_mul_f16_sdwa v64, v64, v39 dst_sel:DWORD dst_unused:UNUSED_PAD src0_sel:DWORD src1_sel:WORD_1
	v_fma_f16 v37, v37, v39, v64
	v_pack_b32_f16 v37, v58, v37
	global_load_dword v58, v[34:35], off offset:576
	v_lshrrev_b32_e32 v39, 16, v65
	s_waitcnt vmcnt(0)
	v_mul_f16_sdwa v64, v39, v58 dst_sel:DWORD dst_unused:UNUSED_PAD src0_sel:DWORD src1_sel:WORD_1
	v_fma_f16 v64, v65, v58, -v64
	v_mul_f16_sdwa v65, v65, v58 dst_sel:DWORD dst_unused:UNUSED_PAD src0_sel:DWORD src1_sel:WORD_1
	v_fma_f16 v39, v39, v58, v65
	v_pack_b32_f16 v39, v64, v39
	ds_write2_b32 v40, v37, v39 offset0:64 offset1:144
	global_load_dword v39, v[34:35], off offset:896
	ds_read2_b32 v[64:65], v36 offset0:96 offset1:176
	s_waitcnt lgkmcnt(0)
	v_lshrrev_b32_e32 v37, 16, v64
	s_waitcnt vmcnt(0)
	v_mul_f16_sdwa v58, v37, v39 dst_sel:DWORD dst_unused:UNUSED_PAD src0_sel:DWORD src1_sel:WORD_1
	v_fma_f16 v58, v64, v39, -v58
	v_mul_f16_sdwa v64, v64, v39 dst_sel:DWORD dst_unused:UNUSED_PAD src0_sel:DWORD src1_sel:WORD_1
	v_fma_f16 v37, v37, v39, v64
	v_pack_b32_f16 v37, v58, v37
	global_load_dword v58, v[34:35], off offset:1216
	v_lshrrev_b32_e32 v39, 16, v65
	s_waitcnt vmcnt(0)
	v_mul_f16_sdwa v64, v39, v58 dst_sel:DWORD dst_unused:UNUSED_PAD src0_sel:DWORD src1_sel:WORD_1
	v_fma_f16 v64, v65, v58, -v64
	v_mul_f16_sdwa v65, v65, v58 dst_sel:DWORD dst_unused:UNUSED_PAD src0_sel:DWORD src1_sel:WORD_1
	v_fma_f16 v39, v39, v58, v65
	v_pack_b32_f16 v39, v64, v39
	ds_write2_b32 v36, v37, v39 offset0:96 offset1:176
	global_load_dword v39, v[34:35], off offset:1536
	ds_read2_b32 v[64:65], v38 offset0:128 offset1:208
	s_waitcnt lgkmcnt(0)
	v_lshrrev_b32_e32 v37, 16, v64
	s_waitcnt vmcnt(0)
	v_mul_f16_sdwa v58, v37, v39 dst_sel:DWORD dst_unused:UNUSED_PAD src0_sel:DWORD src1_sel:WORD_1
	v_fma_f16 v58, v64, v39, -v58
	v_mul_f16_sdwa v64, v64, v39 dst_sel:DWORD dst_unused:UNUSED_PAD src0_sel:DWORD src1_sel:WORD_1
	v_fma_f16 v37, v37, v39, v64
	v_pack_b32_f16 v37, v58, v37
	global_load_dword v58, v[34:35], off offset:1856
	v_lshrrev_b32_e32 v39, 16, v65
	s_waitcnt vmcnt(0)
	v_mul_f16_sdwa v64, v39, v58 dst_sel:DWORD dst_unused:UNUSED_PAD src0_sel:DWORD src1_sel:WORD_1
	v_fma_f16 v64, v65, v58, -v64
	v_mul_f16_sdwa v65, v65, v58 dst_sel:DWORD dst_unused:UNUSED_PAD src0_sel:DWORD src1_sel:WORD_1
	v_fma_f16 v39, v39, v58, v65
	global_load_dword v58, v[34:35], off offset:2176
	v_pack_b32_f16 v39, v64, v39
	global_load_dword v34, v[34:35], off offset:2496
	ds_write2_b32 v38, v37, v39 offset0:128 offset1:208
	v_add_u32_e32 v37, 0x800, v40
	ds_read2_b32 v[64:65], v37 offset0:32 offset1:112
	s_waitcnt lgkmcnt(0)
	v_lshrrev_b32_e32 v39, 16, v64
	s_waitcnt vmcnt(1)
	v_mul_f16_sdwa v66, v39, v58 dst_sel:DWORD dst_unused:UNUSED_PAD src0_sel:DWORD src1_sel:WORD_1
	v_fma_f16 v66, v64, v58, -v66
	v_mul_f16_sdwa v64, v64, v58 dst_sel:DWORD dst_unused:UNUSED_PAD src0_sel:DWORD src1_sel:WORD_1
	v_fma_f16 v39, v39, v58, v64
	v_lshrrev_b32_e32 v58, 16, v65
	s_waitcnt vmcnt(0)
	v_mul_f16_sdwa v35, v58, v34 dst_sel:DWORD dst_unused:UNUSED_PAD src0_sel:DWORD src1_sel:WORD_1
	v_mul_f16_sdwa v64, v65, v34 dst_sel:DWORD dst_unused:UNUSED_PAD src0_sel:DWORD src1_sel:WORD_1
	v_fma_f16 v35, v65, v34, -v35
	v_fma_f16 v34, v58, v34, v64
	v_pack_b32_f16 v39, v66, v39
	v_pack_b32_f16 v34, v35, v34
	ds_write2_b32 v37, v39, v34 offset0:32 offset1:112
.LBB0_13:
	s_or_b64 exec, exec, s[4:5]
	s_waitcnt lgkmcnt(0)
	s_barrier
	ds_read2_b32 v[34:35], v40 offset0:80 offset1:160
	ds_read2_b32 v[36:37], v36 offset0:112 offset1:192
	;; [unrolled: 1-line block ×3, first 2 shown]
	ds_read_b32 v58, v50
	ds_read_b32 v64, v40 offset:2240
	s_and_saveexec_b64 s[0:1], vcc
	s_cbranch_execz .LBB0_15
; %bb.14:
	v_add_u32_e32 v16, 0x200, v40
	v_add_u32_e32 v28, 0x400, v40
	;; [unrolled: 1-line block ×3, first 2 shown]
	ds_read2_b32 v[26:27], v40 offset0:64 offset1:144
	ds_read2_b32 v[30:31], v16 offset0:96 offset1:176
	;; [unrolled: 1-line block ×4, first 2 shown]
	s_waitcnt lgkmcnt(3)
	v_lshrrev_b32_e32 v56, 16, v26
	v_lshrrev_b32_e32 v16, 16, v27
	s_waitcnt lgkmcnt(2)
	v_lshrrev_b32_e32 v61, 16, v30
	v_lshrrev_b32_e32 v60, 16, v31
	;; [unrolled: 3-line block ×4, first 2 shown]
.LBB0_15:
	s_or_b64 exec, exec, s[0:1]
	s_waitcnt lgkmcnt(1)
	v_pk_add_f16 v65, v58, v37 neg_lo:[0,1] neg_hi:[0,1]
	v_pk_add_f16 v67, v34, v38 neg_lo:[0,1] neg_hi:[0,1]
	;; [unrolled: 1-line block ×3, first 2 shown]
	s_waitcnt lgkmcnt(0)
	v_pk_add_f16 v64, v36, v64 neg_lo:[0,1] neg_hi:[0,1]
	v_lshrrev_b32_e32 v38, 16, v65
	v_lshrrev_b32_e32 v70, 16, v67
	v_sub_f16_e32 v39, v38, v66
	v_sub_f16_e32 v71, v70, v64
	v_add_f16_sdwa v37, v65, v66 dst_sel:DWORD dst_unused:UNUSED_PAD src0_sel:DWORD src1_sel:WORD_1
	v_fma_f16 v38, v38, 2.0, -v39
	v_add_f16_sdwa v69, v67, v64 dst_sel:DWORD dst_unused:UNUSED_PAD src0_sel:DWORD src1_sel:WORD_1
	v_fma_f16 v70, v70, 2.0, -v71
	s_mov_b32 s0, 0xb9a8
	v_fma_f16 v68, v65, 2.0, -v37
	v_fma_f16 v72, v67, 2.0, -v69
	v_fma_f16 v74, v70, s0, v38
	v_fma_f16 v73, v72, s0, v68
	s_movk_i32 s1, 0x39a8
	v_fma_f16 v72, v72, s0, v74
	v_fma_f16 v70, v70, s1, v73
	v_fma_f16 v73, v38, 2.0, -v72
	v_fma_f16 v38, v69, s1, v37
	v_fma_f16 v74, v71, s1, v39
	;; [unrolled: 1-line block ×4, first 2 shown]
	v_fma_f16 v74, v37, 2.0, -v71
	v_fma_f16 v75, v39, 2.0, -v69
	v_sub_f16_e32 v28, v26, v28
	v_sub_f16_e32 v37, v56, v59
	;; [unrolled: 1-line block ×4, first 2 shown]
	v_fma_f16 v26, v26, 2.0, -v28
	v_fma_f16 v38, v56, 2.0, -v37
	;; [unrolled: 1-line block ×4, first 2 shown]
	v_sub_f16_e32 v29, v27, v29
	v_sub_f16_e32 v33, v31, v33
	v_fma_f16 v27, v27, 2.0, -v29
	v_sub_f16_e32 v62, v60, v63
	v_fma_f16 v31, v31, 2.0, -v33
	v_sub_f16_e32 v76, v26, v30
	v_sub_f16_e32 v77, v38, v56
	v_sub_f16_e32 v61, v16, v57
	v_fma_f16 v56, v26, 2.0, -v76
	v_fma_f16 v57, v38, 2.0, -v77
	v_add_f16_e32 v38, v39, v28
	v_sub_f16_e32 v26, v27, v31
	v_add_f16_e32 v39, v62, v29
	v_pk_fma_f16 v58, v58, 2.0, v65 op_sel_hi:[1,0,1] neg_lo:[0,0,1] neg_hi:[0,0,1]
	v_pk_fma_f16 v35, v35, 2.0, v66 op_sel_hi:[1,0,1] neg_lo:[0,0,1] neg_hi:[0,0,1]
	;; [unrolled: 1-line block ×4, first 2 shown]
	v_sub_f16_e32 v78, v37, v32
	v_fma_f16 v59, v28, 2.0, -v38
	v_fma_f16 v27, v27, 2.0, -v26
	v_sub_f16_e32 v31, v61, v33
	v_fma_f16 v32, v29, 2.0, -v39
	v_pk_add_f16 v35, v58, v35 neg_lo:[0,1] neg_hi:[0,1]
	v_pk_add_f16 v36, v34, v36 neg_lo:[0,1] neg_hi:[0,1]
	v_fma_f16 v16, v16, 2.0, -v61
	v_fma_f16 v63, v60, 2.0, -v62
	;; [unrolled: 1-line block ×4, first 2 shown]
	v_sub_f16_e32 v28, v56, v27
	v_fma_f16 v27, v32, s0, v59
	v_fma_f16 v61, v31, s1, v78
	v_pk_fma_f16 v58, v58, 2.0, v35 op_sel_hi:[1,0,1] neg_lo:[0,0,1] neg_hi:[0,0,1]
	v_pk_fma_f16 v34, v34, 2.0, v36 op_sel_hi:[1,0,1] neg_lo:[0,0,1] neg_hi:[0,0,1]
	v_fma_f16 v33, v29, s0, v60
	v_fma_f16 v29, v29, s1, v27
	;; [unrolled: 1-line block ×4, first 2 shown]
	v_pk_add_f16 v61, v58, v34 neg_lo:[0,1] neg_hi:[0,1]
	v_pk_fma_f16 v62, v58, 2.0, v61 op_sel_hi:[1,0,1] neg_lo:[0,0,1] neg_hi:[0,0,1]
	v_lshrrev_b32_e32 v58, 16, v35
	v_add_f16_sdwa v34, v35, v36 dst_sel:DWORD dst_unused:UNUSED_PAD src0_sel:DWORD src1_sel:WORD_1
	v_sub_f16_e32 v36, v58, v36
	v_fma_f16 v68, v68, 2.0, -v70
	v_sub_f16_e32 v30, v16, v63
	v_fma_f16 v35, v35, 2.0, -v34
	v_fma_f16 v58, v58, 2.0, -v36
	;; [unrolled: 1-line block ×3, first 2 shown]
	v_fma_f16 v37, v32, s0, v33
	v_add_f16_e32 v30, v30, v76
	v_sub_f16_e32 v33, v77, v26
	v_fma_f16 v31, v31, s1, v27
	v_pack_b32_f16 v65, v74, v75
	v_pack_b32_f16 v64, v35, v58
	;; [unrolled: 1-line block ×3, first 2 shown]
	v_sub_f16_e32 v16, v57, v16
	v_fma_f16 v26, v76, 2.0, -v30
	v_fma_f16 v32, v77, 2.0, -v33
	;; [unrolled: 1-line block ×4, first 2 shown]
	s_barrier
	ds_write_b128 v52, v[62:65]
	v_pack_b32_f16 v64, v71, v69
	v_pack_b32_f16 v63, v34, v36
	;; [unrolled: 1-line block ×3, first 2 shown]
	ds_write_b128 v52, v[61:64] offset:16
	s_and_saveexec_b64 s[0:1], vcc
	s_cbranch_execz .LBB0_17
; %bb.16:
	v_fma_f16 v34, v59, 2.0, -v29
	v_fma_f16 v35, v60, 2.0, -v37
	;; [unrolled: 1-line block ×4, first 2 shown]
	s_mov_b32 s2, 0x5040100
	v_add_lshl_u32 v51, v51, v53, 2
	v_pack_b32_f16 v57, v34, v35
	v_pack_b32_f16 v56, v36, v52
	v_perm_b32 v59, v38, v27, s2
	v_perm_b32 v58, v32, v26, s2
	ds_write_b128 v51, v[56:59]
	v_perm_b32 v59, v39, v31, s2
	v_perm_b32 v58, v33, v30, s2
	;; [unrolled: 1-line block ×4, first 2 shown]
	ds_write_b128 v51, v[56:59] offset:16
.LBB0_17:
	s_or_b64 exec, exec, s[0:1]
	s_waitcnt lgkmcnt(0)
	s_barrier
	ds_read_b32 v36, v50
	ds_read2st64_b32 v[34:35], v40 offset0:1 offset1:2
	ds_read2st64_b32 v[51:52], v40 offset0:3 offset1:4
	;; [unrolled: 1-line block ×4, first 2 shown]
	ds_read_b32 v64, v40 offset:2304
	s_mov_b32 s0, 0xbb9c
	s_waitcnt lgkmcnt(3)
	v_lshrrev_b32_e32 v62, 16, v51
	v_lshrrev_b32_e32 v60, 16, v34
	v_mul_f16_sdwa v70, v0, v60 dst_sel:DWORD dst_unused:UNUSED_PAD src0_sel:WORD_1 src1_sel:DWORD
	v_lshrrev_b32_e32 v61, 16, v35
	v_fma_f16 v70, v0, v34, v70
	v_mul_f16_sdwa v34, v0, v34 dst_sel:DWORD dst_unused:UNUSED_PAD src0_sel:WORD_1 src1_sel:DWORD
	v_fma_f16 v0, v0, v60, -v34
	v_mul_f16_sdwa v34, v1, v61 dst_sel:DWORD dst_unused:UNUSED_PAD src0_sel:WORD_1 src1_sel:DWORD
	v_fma_f16 v34, v1, v35, v34
	v_mul_f16_sdwa v35, v1, v35 dst_sel:DWORD dst_unused:UNUSED_PAD src0_sel:WORD_1 src1_sel:DWORD
	v_fma_f16 v1, v1, v61, -v35
	v_mul_f16_sdwa v35, v2, v62 dst_sel:DWORD dst_unused:UNUSED_PAD src0_sel:WORD_1 src1_sel:DWORD
	v_lshrrev_b32_e32 v63, 16, v52
	v_fma_f16 v35, v2, v51, v35
	v_mul_f16_sdwa v51, v2, v51 dst_sel:DWORD dst_unused:UNUSED_PAD src0_sel:WORD_1 src1_sel:DWORD
	v_fma_f16 v2, v2, v62, -v51
	v_mul_f16_sdwa v51, v3, v63 dst_sel:DWORD dst_unused:UNUSED_PAD src0_sel:WORD_1 src1_sel:DWORD
	s_waitcnt lgkmcnt(2)
	v_lshrrev_b32_e32 v65, 16, v56
	v_fma_f16 v51, v3, v52, v51
	v_mul_f16_sdwa v52, v3, v52 dst_sel:DWORD dst_unused:UNUSED_PAD src0_sel:WORD_1 src1_sel:DWORD
	v_fma_f16 v3, v3, v63, -v52
	v_mul_f16_sdwa v52, v4, v65 dst_sel:DWORD dst_unused:UNUSED_PAD src0_sel:WORD_1 src1_sel:DWORD
	v_lshrrev_b32_e32 v66, 16, v57
	v_fma_f16 v52, v4, v56, v52
	v_mul_f16_sdwa v56, v4, v56 dst_sel:DWORD dst_unused:UNUSED_PAD src0_sel:WORD_1 src1_sel:DWORD
	v_fma_f16 v4, v4, v65, -v56
	v_mul_f16_sdwa v56, v5, v66 dst_sel:DWORD dst_unused:UNUSED_PAD src0_sel:WORD_1 src1_sel:DWORD
	s_waitcnt lgkmcnt(1)
	v_lshrrev_b32_e32 v67, 16, v58
	v_fma_f16 v56, v5, v57, v56
	v_mul_f16_sdwa v57, v5, v57 dst_sel:DWORD dst_unused:UNUSED_PAD src0_sel:WORD_1 src1_sel:DWORD
	v_fma_f16 v5, v5, v66, -v57
	v_mul_f16_sdwa v57, v6, v67 dst_sel:DWORD dst_unused:UNUSED_PAD src0_sel:WORD_1 src1_sel:DWORD
	v_lshrrev_b32_e32 v68, 16, v59
	v_fma_f16 v57, v6, v58, v57
	v_mul_f16_sdwa v58, v6, v58 dst_sel:DWORD dst_unused:UNUSED_PAD src0_sel:WORD_1 src1_sel:DWORD
	v_fma_f16 v6, v6, v67, -v58
	v_mul_f16_sdwa v58, v7, v68 dst_sel:DWORD dst_unused:UNUSED_PAD src0_sel:WORD_1 src1_sel:DWORD
	v_fma_f16 v58, v7, v59, v58
	v_mul_f16_sdwa v59, v7, v59 dst_sel:DWORD dst_unused:UNUSED_PAD src0_sel:WORD_1 src1_sel:DWORD
	s_waitcnt lgkmcnt(0)
	v_lshrrev_b32_e32 v69, 16, v64
	v_fma_f16 v7, v7, v68, -v59
	v_add_f16_e32 v61, v51, v56
	v_mul_f16_sdwa v59, v54, v69 dst_sel:DWORD dst_unused:UNUSED_PAD src0_sel:WORD_1 src1_sel:DWORD
	v_fma_f16 v61, v61, -0.5, v36
	v_sub_f16_e32 v62, v1, v7
	s_movk_i32 s3, 0x3b9c
	v_fma_f16 v59, v54, v64, v59
	v_mul_f16_sdwa v60, v54, v64 dst_sel:DWORD dst_unused:UNUSED_PAD src0_sel:WORD_1 src1_sel:DWORD
	v_fma_f16 v63, v62, s0, v61
	v_sub_f16_e32 v64, v3, v5
	s_mov_b32 s1, 0xb8b4
	v_sub_f16_e32 v65, v34, v51
	v_sub_f16_e32 v66, v58, v56
	v_fma_f16 v61, v62, s3, v61
	s_movk_i32 s4, 0x38b4
	v_fma_f16 v63, v64, s1, v63
	v_add_f16_e32 v65, v65, v66
	s_movk_i32 s2, 0x34f2
	v_fma_f16 v61, v64, s4, v61
	v_fma_f16 v63, v65, s2, v63
	;; [unrolled: 1-line block ×3, first 2 shown]
	v_add_f16_e32 v65, v34, v58
	v_lshrrev_b32_e32 v53, 16, v36
	v_fma_f16 v54, v54, v69, -v60
	v_add_f16_e32 v60, v36, v34
	v_fma_f16 v36, v65, -0.5, v36
	v_add_f16_e32 v60, v60, v51
	v_fma_f16 v65, v64, s3, v36
	v_fma_f16 v36, v64, s0, v36
	v_add_f16_e32 v64, v3, v5
	v_add_f16_e32 v60, v60, v56
	v_sub_f16_e32 v66, v51, v34
	v_sub_f16_e32 v67, v56, v58
	v_fma_f16 v64, v64, -0.5, v53
	v_sub_f16_e32 v34, v34, v58
	v_add_f16_e32 v60, v60, v58
	v_fma_f16 v65, v62, s1, v65
	v_add_f16_e32 v66, v66, v67
	v_fma_f16 v36, v62, s4, v36
	v_fma_f16 v58, v34, s3, v64
	v_sub_f16_e32 v51, v51, v56
	v_fma_f16 v65, v66, s2, v65
	v_fma_f16 v36, v66, s2, v36
	;; [unrolled: 1-line block ×3, first 2 shown]
	v_sub_f16_e32 v58, v1, v3
	v_sub_f16_e32 v66, v7, v5
	v_fma_f16 v64, v34, s0, v64
	v_add_f16_e32 v62, v53, v1
	v_add_f16_e32 v58, v58, v66
	v_fma_f16 v64, v51, s1, v64
	v_add_f16_e32 v62, v62, v3
	v_fma_f16 v56, v58, s2, v56
	v_fma_f16 v58, v58, s2, v64
	v_add_f16_e32 v64, v1, v7
	v_add_f16_e32 v62, v62, v5
	v_fma_f16 v53, v64, -0.5, v53
	v_add_f16_e32 v62, v62, v7
	v_fma_f16 v64, v51, s0, v53
	v_sub_f16_e32 v1, v3, v1
	v_sub_f16_e32 v3, v5, v7
	v_fma_f16 v5, v51, s3, v53
	v_add_f16_e32 v7, v52, v57
	v_fma_f16 v64, v34, s4, v64
	v_add_f16_e32 v1, v1, v3
	v_fma_f16 v5, v34, s1, v5
	v_fma_f16 v7, v7, -0.5, v70
	v_sub_f16_e32 v34, v2, v54
	v_fma_f16 v3, v1, s2, v64
	v_fma_f16 v51, v34, s0, v7
	v_sub_f16_e32 v53, v4, v6
	v_sub_f16_e32 v64, v35, v52
	;; [unrolled: 1-line block ×3, first 2 shown]
	v_fma_f16 v7, v34, s3, v7
	v_fma_f16 v51, v53, s1, v51
	v_add_f16_e32 v64, v64, v66
	v_fma_f16 v7, v53, s4, v7
	v_fma_f16 v51, v64, s2, v51
	;; [unrolled: 1-line block ×3, first 2 shown]
	v_add_f16_e32 v64, v35, v59
	v_fma_f16 v5, v1, s2, v5
	v_add_f16_e32 v1, v70, v35
	v_fma_f16 v64, v64, -0.5, v70
	v_add_f16_e32 v1, v1, v52
	v_fma_f16 v66, v53, s3, v64
	v_fma_f16 v53, v53, s0, v64
	v_add_f16_e32 v64, v4, v6
	v_add_f16_e32 v1, v1, v57
	v_sub_f16_e32 v67, v52, v35
	v_sub_f16_e32 v68, v57, v59
	v_fma_f16 v64, v64, -0.5, v0
	v_sub_f16_e32 v35, v35, v59
	v_add_f16_e32 v1, v1, v59
	v_fma_f16 v66, v34, s1, v66
	v_add_f16_e32 v67, v67, v68
	v_fma_f16 v34, v34, s4, v53
	v_fma_f16 v59, v35, s3, v64
	v_sub_f16_e32 v52, v52, v57
	v_fma_f16 v66, v67, s2, v66
	v_fma_f16 v34, v67, s2, v34
	;; [unrolled: 1-line block ×3, first 2 shown]
	v_sub_f16_e32 v59, v2, v4
	v_sub_f16_e32 v67, v54, v6
	v_fma_f16 v64, v35, s0, v64
	v_add_f16_e32 v59, v59, v67
	v_fma_f16 v64, v52, s1, v64
	v_fma_f16 v57, v59, s2, v57
	;; [unrolled: 1-line block ×3, first 2 shown]
	v_add_f16_e32 v64, v2, v54
	v_add_f16_e32 v53, v0, v2
	v_fma_f16 v0, v64, -0.5, v0
	v_add_f16_e32 v53, v53, v4
	v_fma_f16 v64, v52, s0, v0
	v_sub_f16_e32 v2, v4, v2
	v_sub_f16_e32 v4, v6, v54
	v_fma_f16 v0, v52, s3, v0
	v_fma_f16 v64, v35, s4, v64
	v_add_f16_e32 v2, v2, v4
	v_fma_f16 v0, v35, s1, v0
	v_add_f16_e32 v53, v53, v6
	v_fma_f16 v4, v2, s2, v64
	v_fma_f16 v0, v2, s2, v0
	v_mul_f16_e32 v6, 0xb8b4, v57
	s_movk_i32 s0, 0x3a79
	v_mul_f16_e32 v57, 0x3a79, v57
	v_add_f16_e32 v53, v53, v54
	v_fma_f16 v6, v51, s0, v6
	v_mul_f16_e32 v35, 0xbb9c, v4
	v_mul_f16_e32 v64, 0xbb9c, v0
	s_mov_b32 s0, 0xb4f2
	v_fma_f16 v51, v51, s4, v57
	v_mul_f16_e32 v4, 0x34f2, v4
	v_mul_f16_e32 v0, 0xb4f2, v0
	v_add_f16_e32 v2, v60, v1
	v_add_f16_e32 v52, v63, v6
	v_fma_f16 v35, v66, s2, v35
	v_fma_f16 v64, v34, s0, v64
	v_mul_f16_e32 v68, 0xb8b4, v59
	s_mov_b32 s0, 0xba79
	v_add_f16_e32 v70, v62, v53
	v_add_f16_e32 v57, v56, v51
	v_fma_f16 v4, v66, s3, v4
	v_fma_f16 v34, v34, s3, v0
	v_mul_f16_e32 v0, 0xba79, v59
	v_add_f16_e32 v54, v65, v35
	v_add_f16_e32 v67, v36, v64
	v_fma_f16 v68, v7, s0, v68
	v_add_f16_e32 v66, v3, v4
	v_add_f16_e32 v71, v5, v34
	v_fma_f16 v7, v7, s4, v0
	v_sub_f16_e32 v3, v3, v4
	v_pack_b32_f16 v2, v2, v70
	v_pack_b32_f16 v4, v52, v57
	v_add_f16_e32 v69, v61, v68
	v_add_f16_e32 v59, v58, v7
	v_sub_f16_e32 v60, v60, v1
	v_sub_f16_e32 v0, v36, v64
	;; [unrolled: 1-line block ×3, first 2 shown]
	s_barrier
	ds_write2_b32 v55, v2, v4 offset1:8
	v_pack_b32_f16 v2, v54, v66
	v_pack_b32_f16 v4, v67, v71
	v_sub_f16_e32 v6, v63, v6
	v_sub_f16_e32 v63, v65, v35
	;; [unrolled: 1-line block ×3, first 2 shown]
	ds_write2_b32 v55, v2, v4 offset0:16 offset1:24
	v_pack_b32_f16 v2, v69, v59
	v_pack_b32_f16 v4, v60, v36
	v_sub_f16_e32 v1, v61, v68
	v_sub_f16_e32 v34, v5, v34
	;; [unrolled: 1-line block ×3, first 2 shown]
	ds_write2_b32 v55, v2, v4 offset0:32 offset1:40
	v_pack_b32_f16 v2, v6, v51
	v_pack_b32_f16 v3, v63, v3
	ds_write2_b32 v55, v2, v3 offset0:48 offset1:56
	v_pack_b32_f16 v2, v0, v34
	v_pack_b32_f16 v3, v1, v35
	v_add_u32_e32 v36, 0x200, v40
	v_add_u32_e32 v51, 0x400, v40
	ds_write2_b32 v55, v2, v3 offset0:64 offset1:72
	s_waitcnt lgkmcnt(0)
	s_barrier
	ds_read2_b32 v[6:7], v40 offset0:80 offset1:160
	ds_read2_b32 v[4:5], v36 offset0:112 offset1:192
	;; [unrolled: 1-line block ×3, first 2 shown]
	ds_read_b32 v52, v50
	ds_read_b32 v53, v40 offset:2240
	s_and_saveexec_b64 s[0:1], vcc
	s_cbranch_execz .LBB0_19
; %bb.18:
	v_add_u32_e32 v16, 0x800, v40
	ds_read2_b32 v[0:1], v40 offset0:64 offset1:144
	ds_read2_b32 v[26:27], v36 offset0:96 offset1:176
	;; [unrolled: 1-line block ×4, first 2 shown]
	s_waitcnt lgkmcnt(3)
	v_lshrrev_b32_e32 v34, 16, v0
	v_lshrrev_b32_e32 v35, 16, v1
	s_waitcnt lgkmcnt(2)
	v_lshrrev_b32_e32 v32, 16, v26
	v_lshrrev_b32_e32 v38, 16, v27
	;; [unrolled: 3-line block ×4, first 2 shown]
.LBB0_19:
	s_or_b64 exec, exec, s[0:1]
	s_waitcnt lgkmcnt(4)
	v_lshrrev_b32_e32 v55, 16, v6
	v_mul_f16_sdwa v62, v12, v55 dst_sel:DWORD dst_unused:UNUSED_PAD src0_sel:WORD_1 src1_sel:DWORD
	v_lshrrev_b32_e32 v56, 16, v7
	v_fma_f16 v62, v12, v6, v62
	v_mul_f16_sdwa v6, v12, v6 dst_sel:DWORD dst_unused:UNUSED_PAD src0_sel:WORD_1 src1_sel:DWORD
	v_fma_f16 v6, v12, v55, -v6
	v_mul_f16_sdwa v12, v13, v56 dst_sel:DWORD dst_unused:UNUSED_PAD src0_sel:WORD_1 src1_sel:DWORD
	s_waitcnt lgkmcnt(3)
	v_lshrrev_b32_e32 v57, 16, v4
	v_fma_f16 v12, v13, v7, v12
	v_mul_f16_sdwa v7, v13, v7 dst_sel:DWORD dst_unused:UNUSED_PAD src0_sel:WORD_1 src1_sel:DWORD
	v_fma_f16 v7, v13, v56, -v7
	v_mul_f16_sdwa v13, v14, v57 dst_sel:DWORD dst_unused:UNUSED_PAD src0_sel:WORD_1 src1_sel:DWORD
	v_lshrrev_b32_e32 v58, 16, v5
	v_fma_f16 v13, v14, v4, v13
	v_mul_f16_sdwa v4, v14, v4 dst_sel:DWORD dst_unused:UNUSED_PAD src0_sel:WORD_1 src1_sel:DWORD
	v_fma_f16 v4, v14, v57, -v4
	v_mul_f16_sdwa v14, v15, v58 dst_sel:DWORD dst_unused:UNUSED_PAD src0_sel:WORD_1 src1_sel:DWORD
	s_waitcnt lgkmcnt(2)
	v_lshrrev_b32_e32 v59, 16, v2
	v_fma_f16 v14, v15, v5, v14
	v_mul_f16_sdwa v5, v15, v5 dst_sel:DWORD dst_unused:UNUSED_PAD src0_sel:WORD_1 src1_sel:DWORD
	v_fma_f16 v5, v15, v58, -v5
	;; [unrolled: 11-line block ×3, first 2 shown]
	v_mul_f16_sdwa v18, v19, v61 dst_sel:DWORD dst_unused:UNUSED_PAD src0_sel:WORD_1 src1_sel:DWORD
	v_fma_f16 v18, v19, v53, v18
	v_mul_f16_sdwa v53, v19, v53 dst_sel:DWORD dst_unused:UNUSED_PAD src0_sel:WORD_1 src1_sel:DWORD
	v_lshrrev_b32_e32 v54, 16, v52
	v_fma_f16 v19, v19, v61, -v53
	v_sub_f16_e32 v14, v52, v14
	v_sub_f16_e32 v5, v54, v5
	;; [unrolled: 1-line block ×8, first 2 shown]
	v_fma_f16 v52, v52, 2.0, -v14
	v_fma_f16 v53, v54, 2.0, -v5
	;; [unrolled: 1-line block ×8, first 2 shown]
	v_add_f16_e32 v3, v14, v3
	v_sub_f16_e32 v17, v5, v17
	v_add_f16_e32 v19, v15, v19
	v_sub_f16_e32 v18, v2, v18
	v_sub_f16_e32 v12, v52, v12
	;; [unrolled: 1-line block ×3, first 2 shown]
	v_fma_f16 v14, v14, 2.0, -v3
	v_fma_f16 v5, v5, 2.0, -v17
	v_sub_f16_e32 v13, v54, v13
	v_sub_f16_e32 v4, v6, v4
	v_fma_f16 v15, v15, 2.0, -v19
	v_fma_f16 v2, v2, 2.0, -v18
	s_mov_b32 s2, 0xb9a8
	v_fma_f16 v52, v52, 2.0, -v12
	v_fma_f16 v53, v53, 2.0, -v7
	;; [unrolled: 1-line block ×4, first 2 shown]
	v_fma_f16 v55, v15, s2, v14
	v_fma_f16 v56, v2, s2, v5
	s_movk_i32 s3, 0x39a8
	v_sub_f16_e32 v54, v52, v54
	v_sub_f16_e32 v6, v53, v6
	v_fma_f16 v2, v2, s3, v55
	v_fma_f16 v15, v15, s2, v56
	v_add_f16_e32 v4, v12, v4
	v_sub_f16_e32 v13, v7, v13
	v_fma_f16 v55, v19, s3, v3
	v_fma_f16 v56, v18, s3, v17
	v_fma_f16 v52, v52, 2.0, -v54
	v_fma_f16 v53, v53, 2.0, -v6
	;; [unrolled: 1-line block ×6, first 2 shown]
	v_fma_f16 v18, v18, s3, v55
	v_fma_f16 v19, v19, s2, v56
	v_fma_f16 v3, v3, 2.0, -v18
	v_fma_f16 v17, v17, 2.0, -v19
	v_pack_b32_f16 v52, v52, v53
	v_pack_b32_f16 v5, v14, v5
	;; [unrolled: 1-line block ×3, first 2 shown]
	ds_write_b32 v50, v52
	ds_write2_b32 v40, v5, v7 offset0:80 offset1:160
	v_pack_b32_f16 v3, v3, v17
	v_pack_b32_f16 v5, v54, v6
	ds_write2_b32 v36, v3, v5 offset0:112 offset1:192
	v_pack_b32_f16 v2, v2, v15
	v_pack_b32_f16 v3, v4, v13
	ds_write2_b32 v51, v2, v3 offset0:144 offset1:224
	v_pack_b32_f16 v2, v18, v19
	ds_write_b32 v40, v2 offset:2240
	s_and_saveexec_b64 s[0:1], vcc
	s_cbranch_execz .LBB0_21
; %bb.20:
	v_mul_f16_sdwa v6, v8, v1 dst_sel:DWORD dst_unused:UNUSED_PAD src0_sel:WORD_1 src1_sel:DWORD
	v_mul_f16_sdwa v12, v10, v38 dst_sel:DWORD dst_unused:UNUSED_PAD src0_sel:WORD_1 src1_sel:DWORD
	;; [unrolled: 1-line block ×7, first 2 shown]
	v_fma_f16 v6, v8, v35, -v6
	v_mul_f16_sdwa v7, v20, v29 dst_sel:DWORD dst_unused:UNUSED_PAD src0_sel:WORD_1 src1_sel:DWORD
	v_fma_f16 v12, v10, v27, v12
	v_fma_f16 v10, v10, v38, -v15
	v_mul_f16_sdwa v15, v22, v31 dst_sel:DWORD dst_unused:UNUSED_PAD src0_sel:WORD_1 src1_sel:DWORD
	v_fma_f16 v1, v8, v1, v17
	v_mul_f16_sdwa v8, v20, v37 dst_sel:DWORD dst_unused:UNUSED_PAD src0_sel:WORD_1 src1_sel:DWORD
	v_fma_f16 v2, v9, v32, -v2
	v_fma_f16 v3, v21, v33, -v3
	v_fma_f16 v4, v11, v28, v4
	v_fma_f16 v7, v20, v37, -v7
	v_mul_f16_sdwa v13, v22, v39 dst_sel:DWORD dst_unused:UNUSED_PAD src0_sel:WORD_1 src1_sel:DWORD
	v_fma_f16 v15, v22, v39, -v15
	v_fma_f16 v8, v20, v29, v8
	v_mul_f16_sdwa v20, v11, v28 dst_sel:DWORD dst_unused:UNUSED_PAD src0_sel:WORD_1 src1_sel:DWORD
	v_sub_f16_e32 v3, v2, v3
	v_sub_f16_e32 v4, v0, v4
	v_fma_f16 v13, v22, v31, v13
	v_sub_f16_e32 v15, v10, v15
	v_sub_f16_e32 v8, v1, v8
	v_fma_f16 v11, v11, v16, -v20
	v_mul_f16_sdwa v16, v9, v32 dst_sel:DWORD dst_unused:UNUSED_PAD src0_sel:WORD_1 src1_sel:DWORD
	v_add_f16_e32 v5, v3, v4
	v_sub_f16_e32 v7, v6, v7
	v_sub_f16_e32 v13, v12, v13
	v_add_f16_e32 v17, v15, v8
	v_fma_f16 v9, v9, v26, v16
	v_mul_f16_sdwa v16, v21, v33 dst_sel:DWORD dst_unused:UNUSED_PAD src0_sel:WORD_1 src1_sel:DWORD
	v_sub_f16_e32 v14, v7, v13
	v_fma_f16 v18, v17, s3, v5
	v_sub_f16_e32 v11, v34, v11
	v_fma_f16 v16, v21, v30, v16
	v_fma_f16 v18, v14, s3, v18
	v_sub_f16_e32 v16, v9, v16
	v_fma_f16 v26, v34, 2.0, -v11
	v_fma_f16 v2, v2, 2.0, -v3
	v_fma_f16 v1, v1, 2.0, -v8
	v_fma_f16 v3, v12, 2.0, -v13
	v_fma_f16 v19, v5, 2.0, -v18
	v_sub_f16_e32 v20, v11, v16
	v_fma_f16 v0, v0, 2.0, -v4
	v_fma_f16 v9, v9, 2.0, -v16
	v_fma_f16 v6, v6, 2.0, -v7
	v_fma_f16 v10, v10, 2.0, -v15
	v_sub_f16_e32 v2, v26, v2
	v_sub_f16_e32 v3, v1, v3
	v_fma_f16 v4, v4, 2.0, -v5
	v_fma_f16 v5, v7, 2.0, -v14
	;; [unrolled: 1-line block ×3, first 2 shown]
	v_sub_f16_e32 v9, v0, v9
	v_sub_f16_e32 v10, v6, v10
	;; [unrolled: 1-line block ×3, first 2 shown]
	v_fma_f16 v8, v7, s2, v4
	v_fma_f16 v11, v11, 2.0, -v20
	v_fma_f16 v13, v2, 2.0, -v12
	v_fma_f16 v8, v5, s3, v8
	v_fma_f16 v5, v5, s2, v11
	v_fma_f16 v0, v0, 2.0, -v9
	v_fma_f16 v1, v1, 2.0, -v3
	;; [unrolled: 1-line block ×4, first 2 shown]
	v_fma_f16 v21, v14, s3, v20
	v_fma_f16 v5, v7, s2, v5
	v_sub_f16_e32 v1, v0, v1
	v_sub_f16_e32 v3, v2, v3
	v_fma_f16 v21, v17, s2, v21
	v_add_f16_e32 v15, v9, v10
	v_fma_f16 v4, v4, 2.0, -v8
	v_fma_f16 v7, v11, 2.0, -v5
	v_fma_f16 v0, v0, 2.0, -v1
	v_fma_f16 v2, v2, 2.0, -v3
	v_fma_f16 v22, v20, 2.0, -v21
	v_fma_f16 v16, v9, 2.0, -v15
	v_pack_b32_f16 v0, v0, v2
	v_pack_b32_f16 v2, v4, v7
	ds_write2_b32 v40, v0, v2 offset0:64 offset1:144
	v_pack_b32_f16 v0, v16, v13
	v_pack_b32_f16 v2, v19, v22
	v_add_u32_e32 v4, 0x200, v40
	ds_write2_b32 v4, v0, v2 offset0:96 offset1:176
	v_pack_b32_f16 v0, v1, v3
	v_pack_b32_f16 v1, v8, v5
	v_add_u32_e32 v2, 0x400, v40
	;; [unrolled: 4-line block ×3, first 2 shown]
	ds_write2_b32 v2, v0, v1 offset0:32 offset1:112
.LBB0_21:
	s_or_b64 exec, exec, s[0:1]
	s_waitcnt lgkmcnt(0)
	s_barrier
	ds_read_b32 v0, v50
	ds_read_b32 v1, v40 offset:2240
	s_mov_b32 s12, 0x9999999a
	s_mov_b32 s13, 0x3f599999
	v_mad_u64_u32 v[4:5], s[0:1], s10, v25, 0
	s_waitcnt lgkmcnt(1)
	v_lshrrev_b32_e32 v7, 16, v0
	v_mul_f16_sdwa v2, v49, v7 dst_sel:DWORD dst_unused:UNUSED_PAD src0_sel:WORD_1 src1_sel:DWORD
	v_fma_f16 v2, v49, v0, v2
	v_cvt_f32_f16_e32 v2, v2
	v_mad_u64_u32 v[5:6], s[0:1], s11, v25, v[5:6]
	s_movk_i32 s11, 0x1ff
	v_cvt_f64_f32_e32 v[2:3], v2
	s_movk_i32 s10, 0xffe
	v_mul_f16_sdwa v0, v49, v0 dst_sel:DWORD dst_unused:UNUSED_PAD src0_sel:WORD_1 src1_sel:DWORD
	v_fma_f16 v0, v49, v7, -v0
	v_mul_f64 v[2:3], v[2:3], s[12:13]
	v_cvt_f32_f16_e32 v0, v0
	s_movk_i32 s14, 0x40f
	s_mov_b32 s15, 0x8000
	v_and_or_b32 v2, v3, s11, v2
	v_cmp_ne_u32_e64 s[0:1], 0, v2
	v_lshrrev_b32_e32 v6, 8, v3
	v_bfe_u32 v8, v3, 20, 11
	v_cndmask_b32_e64 v2, 0, 1, s[0:1]
	v_and_or_b32 v9, v6, s10, v2
	v_sub_u32_e32 v6, 0x3f1, v8
	v_or_b32_e32 v2, 0x1000, v9
	v_med3_i32 v6, v6, 0, 13
	v_lshrrev_b32_e32 v10, v6, v2
	v_lshlrev_b32_e32 v6, v6, v10
	v_cmp_ne_u32_e64 s[0:1], v6, v2
	v_cndmask_b32_e64 v2, 0, 1, s[0:1]
	v_add_u32_e32 v8, 0xfffffc10, v8
	v_or_b32_e32 v2, v10, v2
	v_lshl_or_b32 v6, v8, 12, v9
	v_cmp_gt_i32_e64 s[0:1], 1, v8
	v_cndmask_b32_e64 v2, v6, v2, s[0:1]
	v_and_b32_e32 v6, 7, v2
	v_cmp_lt_i32_e64 s[0:1], 5, v6
	v_cmp_eq_u32_e64 s[2:3], 3, v6
	v_cvt_f64_f32_e32 v[6:7], v0
	v_lshrrev_b32_e32 v2, 2, v2
	s_or_b64 s[0:1], s[2:3], s[0:1]
	v_addc_co_u32_e64 v10, s[0:1], 0, v2, s[0:1]
	v_mul_f64 v[6:7], v[6:7], s[12:13]
	v_mov_b32_e32 v2, 0x7c00
	v_cmp_gt_i32_e64 s[0:1], 31, v8
	v_cndmask_b32_e64 v0, v2, v10, s[0:1]
	v_cmp_ne_u32_e64 s[0:1], 0, v9
	v_cndmask_b32_e64 v9, 0, 1, s[0:1]
	v_lshl_or_b32 v9, v9, 9, v2
	v_cmp_eq_u32_e64 s[0:1], s14, v8
	v_cndmask_b32_e64 v0, v0, v9, s[0:1]
	v_lshrrev_b32_e32 v3, 16, v3
	v_and_or_b32 v3, v3, s15, v0
	v_and_or_b32 v0, v7, s11, v6
	v_cmp_ne_u32_e64 s[0:1], 0, v0
	v_cndmask_b32_e64 v0, 0, 1, s[0:1]
	v_lshrrev_b32_e32 v6, 8, v7
	v_bfe_u32 v8, v7, 20, 11
	v_and_or_b32 v0, v6, s10, v0
	v_sub_u32_e32 v9, 0x3f1, v8
	v_or_b32_e32 v6, 0x1000, v0
	v_med3_i32 v9, v9, 0, 13
	v_lshrrev_b32_e32 v10, v9, v6
	v_lshlrev_b32_e32 v9, v9, v10
	v_cmp_ne_u32_e64 s[0:1], v9, v6
	v_cndmask_b32_e64 v6, 0, 1, s[0:1]
	v_or_b32_e32 v6, v10, v6
	v_add_u32_e32 v10, 0xfffffc10, v8
	v_lshl_or_b32 v8, v10, 12, v0
	v_cmp_gt_i32_e64 s[0:1], 1, v10
	v_cndmask_b32_e64 v6, v8, v6, s[0:1]
	v_and_b32_e32 v8, 7, v6
	v_cmp_lt_i32_e64 s[0:1], 5, v8
	v_cmp_eq_u32_e64 s[2:3], 3, v8
	v_lshrrev_b32_e32 v6, 2, v6
	s_or_b64 s[0:1], s[2:3], s[0:1]
	v_addc_co_u32_e64 v6, s[0:1], 0, v6, s[0:1]
	v_cmp_gt_i32_e64 s[0:1], 31, v10
	v_cndmask_b32_e64 v6, v2, v6, s[0:1]
	v_cmp_ne_u32_e64 s[0:1], 0, v0
	v_cndmask_b32_e64 v0, 0, 1, s[0:1]
	v_mad_u64_u32 v[8:9], s[0:1], s8, v47, 0
	v_cmp_eq_u32_e64 s[0:1], s14, v10
	ds_read2_b32 v[10:11], v40 offset0:80 offset1:160
	v_lshl_or_b32 v0, v0, 9, v2
	v_cndmask_b32_e64 v12, v6, v0, s[0:1]
	v_mov_b32_e32 v0, v9
	v_lshrrev_b32_e32 v13, 16, v7
	s_waitcnt lgkmcnt(1)
	v_mad_u64_u32 v[6:7], s[0:1], s9, v47, v[0:1]
	s_waitcnt lgkmcnt(0)
	v_lshrrev_b32_e32 v0, 16, v10
	v_mul_f16_sdwa v7, v48, v0 dst_sel:DWORD dst_unused:UNUSED_PAD src0_sel:WORD_1 src1_sel:DWORD
	v_fma_f16 v7, v48, v10, v7
	v_cvt_f32_f16_e32 v7, v7
	v_mov_b32_e32 v9, v6
	v_and_or_b32 v12, v13, s15, v12
	v_and_b32_e32 v3, 0xffff, v3
	v_cvt_f64_f32_e32 v[6:7], v7
	v_lshl_or_b32 v12, v12, 16, v3
	v_lshlrev_b64 v[3:4], 2, v[4:5]
	v_mov_b32_e32 v13, s7
	v_mul_f64 v[5:6], v[6:7], s[12:13]
	v_add_co_u32_e64 v7, s[0:1], s6, v3
	v_addc_co_u32_e64 v13, s[0:1], v13, v4, s[0:1]
	v_lshlrev_b64 v[3:4], 2, v[8:9]
	v_mul_f16_sdwa v10, v48, v10 dst_sel:DWORD dst_unused:UNUSED_PAD src0_sel:WORD_1 src1_sel:DWORD
	v_add_co_u32_e64 v3, s[0:1], v7, v3
	v_addc_co_u32_e64 v4, s[0:1], v13, v4, s[0:1]
	v_and_or_b32 v5, v6, s11, v5
	v_cmp_ne_u32_e64 s[0:1], 0, v5
	v_cndmask_b32_e64 v5, 0, 1, s[0:1]
	v_lshrrev_b32_e32 v7, 8, v6
	v_bfe_u32 v8, v6, 20, 11
	v_and_or_b32 v5, v7, s10, v5
	v_sub_u32_e32 v9, 0x3f1, v8
	v_or_b32_e32 v7, 0x1000, v5
	v_med3_i32 v9, v9, 0, 13
	global_store_dword v[3:4], v12, off
	v_lshrrev_b32_e32 v12, v9, v7
	v_lshlrev_b32_e32 v9, v9, v12
	v_cmp_ne_u32_e64 s[0:1], v9, v7
	v_fma_f16 v0, v48, v0, -v10
	v_cndmask_b32_e64 v7, 0, 1, s[0:1]
	v_add_u32_e32 v9, 0xfffffc10, v8
	v_cvt_f32_f16_e32 v0, v0
	v_or_b32_e32 v7, v12, v7
	v_lshl_or_b32 v8, v9, 12, v5
	v_cmp_gt_i32_e64 s[0:1], 1, v9
	v_cndmask_b32_e64 v7, v8, v7, s[0:1]
	v_and_b32_e32 v8, 7, v7
	v_cmp_lt_i32_e64 s[0:1], 5, v8
	v_cmp_eq_u32_e64 s[2:3], 3, v8
	v_lshrrev_b32_e32 v10, 2, v7
	v_cvt_f64_f32_e32 v[7:8], v0
	s_or_b64 s[0:1], s[2:3], s[0:1]
	v_addc_co_u32_e64 v0, s[0:1], 0, v10, s[0:1]
	v_mul_f64 v[7:8], v[7:8], s[12:13]
	v_cmp_gt_i32_e64 s[0:1], 31, v9
	v_cndmask_b32_e64 v0, v2, v0, s[0:1]
	v_cmp_ne_u32_e64 s[0:1], 0, v5
	v_cndmask_b32_e64 v5, 0, 1, s[0:1]
	v_lshl_or_b32 v5, v5, 9, v2
	v_cmp_eq_u32_e64 s[0:1], s14, v9
	v_cndmask_b32_e64 v0, v0, v5, s[0:1]
	v_lshrrev_b32_e32 v5, 16, v6
	v_and_or_b32 v0, v5, s15, v0
	v_and_or_b32 v5, v8, s11, v7
	v_cmp_ne_u32_e64 s[0:1], 0, v5
	v_cndmask_b32_e64 v5, 0, 1, s[0:1]
	v_lshrrev_b32_e32 v6, 8, v8
	v_bfe_u32 v7, v8, 20, 11
	v_and_or_b32 v5, v6, s10, v5
	v_sub_u32_e32 v9, 0x3f1, v7
	v_or_b32_e32 v6, 0x1000, v5
	v_med3_i32 v9, v9, 0, 13
	v_lshrrev_b32_e32 v10, v9, v6
	v_lshlrev_b32_e32 v9, v9, v10
	v_cmp_ne_u32_e64 s[0:1], v9, v6
	v_cndmask_b32_e64 v6, 0, 1, s[0:1]
	v_add_u32_e32 v7, 0xfffffc10, v7
	v_or_b32_e32 v6, v10, v6
	v_lshl_or_b32 v9, v7, 12, v5
	v_cmp_gt_i32_e64 s[0:1], 1, v7
	v_cndmask_b32_e64 v6, v9, v6, s[0:1]
	v_and_b32_e32 v9, 7, v6
	v_cmp_lt_i32_e64 s[0:1], 5, v9
	v_cmp_eq_u32_e64 s[2:3], 3, v9
	v_lshrrev_b32_e32 v6, 2, v6
	s_or_b64 s[0:1], s[2:3], s[0:1]
	v_addc_co_u32_e64 v6, s[0:1], 0, v6, s[0:1]
	v_cmp_gt_i32_e64 s[0:1], 31, v7
	v_cndmask_b32_e64 v6, v2, v6, s[0:1]
	v_cmp_ne_u32_e64 s[0:1], 0, v5
	v_cndmask_b32_e64 v5, 0, 1, s[0:1]
	v_lshl_or_b32 v5, v5, 9, v2
	v_cmp_eq_u32_e64 s[0:1], s14, v7
	v_cndmask_b32_e64 v5, v6, v5, s[0:1]
	v_lshrrev_b32_e32 v6, 16, v8
	v_lshrrev_b32_e32 v9, 16, v11
	v_and_or_b32 v7, v6, s15, v5
	v_mul_f16_sdwa v5, v46, v9 dst_sel:DWORD dst_unused:UNUSED_PAD src0_sel:WORD_1 src1_sel:DWORD
	v_fma_f16 v5, v46, v11, v5
	v_cvt_f32_f16_e32 v5, v5
	s_mul_i32 s0, s9, 0x50
	s_mul_hi_u32 s1, s8, 0x50
	s_add_i32 s1, s1, s0
	v_cvt_f64_f32_e32 v[5:6], v5
	s_mul_i32 s0, s8, 0x50
	v_and_b32_e32 v0, 0xffff, v0
	s_lshl_b64 s[6:7], s[0:1], 2
	v_mul_f64 v[5:6], v[5:6], s[12:13]
	v_lshl_or_b32 v0, v7, 16, v0
	v_mov_b32_e32 v13, s7
	v_add_co_u32_e64 v7, s[0:1], s6, v3
	v_addc_co_u32_e64 v8, s[0:1], v4, v13, s[0:1]
	global_store_dword v[7:8], v0, off
	v_and_or_b32 v0, v6, s11, v5
	v_cmp_ne_u32_e64 s[0:1], 0, v0
	v_cndmask_b32_e64 v0, 0, 1, s[0:1]
	v_lshrrev_b32_e32 v3, 8, v6
	v_bfe_u32 v4, v6, 20, 11
	v_and_or_b32 v0, v3, s10, v0
	v_sub_u32_e32 v5, 0x3f1, v4
	v_or_b32_e32 v3, 0x1000, v0
	v_med3_i32 v5, v5, 0, 13
	v_lshrrev_b32_e32 v10, v5, v3
	v_lshlrev_b32_e32 v5, v5, v10
	v_cmp_ne_u32_e64 s[0:1], v5, v3
	v_mul_f16_sdwa v5, v46, v11 dst_sel:DWORD dst_unused:UNUSED_PAD src0_sel:WORD_1 src1_sel:DWORD
	v_cndmask_b32_e64 v3, 0, 1, s[0:1]
	v_fma_f16 v5, v46, v9, -v5
	v_or_b32_e32 v3, v10, v3
	v_add_u32_e32 v10, 0xfffffc10, v4
	v_cvt_f32_f16_e32 v5, v5
	v_lshl_or_b32 v4, v10, 12, v0
	v_cmp_gt_i32_e64 s[0:1], 1, v10
	v_cndmask_b32_e64 v3, v4, v3, s[0:1]
	v_and_b32_e32 v4, 7, v3
	v_cmp_lt_i32_e64 s[0:1], 5, v4
	v_cmp_eq_u32_e64 s[2:3], 3, v4
	v_lshrrev_b32_e32 v9, 2, v3
	v_cvt_f64_f32_e32 v[3:4], v5
	s_or_b64 s[0:1], s[2:3], s[0:1]
	v_addc_co_u32_e64 v5, s[0:1], 0, v9, s[0:1]
	v_cmp_gt_i32_e64 s[0:1], 31, v10
	v_cndmask_b32_e64 v9, v2, v5, s[0:1]
	v_mul_f64 v[4:5], v[3:4], s[12:13]
	v_cmp_ne_u32_e64 s[0:1], 0, v0
	v_cndmask_b32_e64 v0, 0, 1, s[0:1]
	v_lshl_or_b32 v0, v0, 9, v2
	v_cmp_eq_u32_e64 s[0:1], s14, v10
	v_cndmask_b32_e64 v0, v9, v0, s[0:1]
	v_lshrrev_b32_e32 v3, 16, v6
	v_and_or_b32 v0, v3, s15, v0
	v_and_or_b32 v3, v5, s11, v4
	v_cmp_ne_u32_e64 s[0:1], 0, v3
	v_cndmask_b32_e64 v3, 0, 1, s[0:1]
	v_lshrrev_b32_e32 v4, 8, v5
	v_bfe_u32 v6, v5, 20, 11
	v_and_or_b32 v3, v4, s10, v3
	v_sub_u32_e32 v9, 0x3f1, v6
	v_or_b32_e32 v4, 0x1000, v3
	v_med3_i32 v9, v9, 0, 13
	v_lshrrev_b32_e32 v10, v9, v4
	v_lshlrev_b32_e32 v9, v9, v10
	v_cmp_ne_u32_e64 s[0:1], v9, v4
	v_cndmask_b32_e64 v4, 0, 1, s[0:1]
	v_add_u32_e32 v6, 0xfffffc10, v6
	v_or_b32_e32 v4, v10, v4
	v_lshl_or_b32 v9, v6, 12, v3
	v_cmp_gt_i32_e64 s[0:1], 1, v6
	v_cndmask_b32_e64 v4, v9, v4, s[0:1]
	v_and_b32_e32 v9, 7, v4
	v_lshrrev_b32_e32 v11, 2, v4
	v_add_u32_e32 v4, 0x200, v40
	v_cmp_lt_i32_e64 s[0:1], 5, v9
	v_cmp_eq_u32_e64 s[2:3], 3, v9
	ds_read2_b32 v[9:10], v4 offset0:112 offset1:192
	s_or_b64 s[0:1], s[2:3], s[0:1]
	v_addc_co_u32_e64 v11, s[0:1], 0, v11, s[0:1]
	v_cmp_gt_i32_e64 s[0:1], 31, v6
	s_waitcnt lgkmcnt(0)
	v_lshrrev_b32_e32 v15, 16, v9
	v_cndmask_b32_e64 v14, v2, v11, s[0:1]
	v_mul_f16_sdwa v11, v45, v15 dst_sel:DWORD dst_unused:UNUSED_PAD src0_sel:WORD_1 src1_sel:DWORD
	v_fma_f16 v11, v45, v9, v11
	v_cvt_f32_f16_e32 v11, v11
	v_cmp_ne_u32_e64 s[0:1], 0, v3
	v_cndmask_b32_e64 v3, 0, 1, s[0:1]
	v_lshl_or_b32 v3, v3, 9, v2
	v_cvt_f64_f32_e32 v[11:12], v11
	v_cmp_eq_u32_e64 s[0:1], s14, v6
	v_cndmask_b32_e64 v3, v14, v3, s[0:1]
	v_lshrrev_b32_e32 v5, 16, v5
	v_and_or_b32 v3, v5, s15, v3
	v_mul_f64 v[5:6], v[11:12], s[12:13]
	v_and_b32_e32 v0, 0xffff, v0
	v_add_co_u32_e64 v7, s[0:1], s6, v7
	v_lshl_or_b32 v0, v3, 16, v0
	v_addc_co_u32_e64 v8, s[0:1], v8, v13, s[0:1]
	global_store_dword v[7:8], v0, off
	v_and_or_b32 v0, v6, s11, v5
	v_cmp_ne_u32_e64 s[0:1], 0, v0
	v_cndmask_b32_e64 v0, 0, 1, s[0:1]
	v_lshrrev_b32_e32 v3, 8, v6
	v_bfe_u32 v5, v6, 20, 11
	v_and_or_b32 v0, v3, s10, v0
	v_sub_u32_e32 v11, 0x3f1, v5
	v_or_b32_e32 v3, 0x1000, v0
	v_med3_i32 v11, v11, 0, 13
	v_lshrrev_b32_e32 v12, v11, v3
	v_lshlrev_b32_e32 v11, v11, v12
	v_mul_f16_sdwa v9, v45, v9 dst_sel:DWORD dst_unused:UNUSED_PAD src0_sel:WORD_1 src1_sel:DWORD
	v_cmp_ne_u32_e64 s[0:1], v11, v3
	v_fma_f16 v9, v45, v15, -v9
	v_cndmask_b32_e64 v3, 0, 1, s[0:1]
	v_add_u32_e32 v5, 0xfffffc10, v5
	v_cvt_f32_f16_e32 v9, v9
	v_or_b32_e32 v3, v12, v3
	v_lshl_or_b32 v11, v5, 12, v0
	v_cmp_gt_i32_e64 s[0:1], 1, v5
	v_cndmask_b32_e64 v3, v11, v3, s[0:1]
	v_and_b32_e32 v11, 7, v3
	v_cmp_lt_i32_e64 s[0:1], 5, v11
	v_cmp_eq_u32_e64 s[2:3], 3, v11
	v_cvt_f64_f32_e32 v[11:12], v9
	v_lshrrev_b32_e32 v3, 2, v3
	s_or_b64 s[0:1], s[2:3], s[0:1]
	v_addc_co_u32_e64 v3, s[0:1], 0, v3, s[0:1]
	v_mul_f64 v[11:12], v[11:12], s[12:13]
	v_cmp_gt_i32_e64 s[0:1], 31, v5
	v_cndmask_b32_e64 v3, v2, v3, s[0:1]
	v_cmp_ne_u32_e64 s[0:1], 0, v0
	v_cndmask_b32_e64 v0, 0, 1, s[0:1]
	v_lshl_or_b32 v0, v0, 9, v2
	v_cmp_eq_u32_e64 s[0:1], s14, v5
	v_cndmask_b32_e64 v0, v3, v0, s[0:1]
	v_lshrrev_b32_e32 v3, 16, v6
	v_and_or_b32 v0, v3, s15, v0
	v_and_or_b32 v3, v12, s11, v11
	v_cmp_ne_u32_e64 s[0:1], 0, v3
	v_cndmask_b32_e64 v3, 0, 1, s[0:1]
	v_lshrrev_b32_e32 v5, 8, v12
	v_bfe_u32 v6, v12, 20, 11
	v_and_or_b32 v3, v5, s10, v3
	v_sub_u32_e32 v9, 0x3f1, v6
	v_or_b32_e32 v5, 0x1000, v3
	v_med3_i32 v9, v9, 0, 13
	v_lshrrev_b32_e32 v11, v9, v5
	v_lshlrev_b32_e32 v9, v9, v11
	v_cmp_ne_u32_e64 s[0:1], v9, v5
	v_cndmask_b32_e64 v5, 0, 1, s[0:1]
	v_add_u32_e32 v9, 0xfffffc10, v6
	v_or_b32_e32 v5, v11, v5
	v_lshl_or_b32 v6, v9, 12, v3
	v_cmp_gt_i32_e64 s[0:1], 1, v9
	v_cndmask_b32_e64 v5, v6, v5, s[0:1]
	v_and_b32_e32 v6, 7, v5
	v_cmp_lt_i32_e64 s[0:1], 5, v6
	v_cmp_eq_u32_e64 s[2:3], 3, v6
	v_lshrrev_b32_e32 v5, 2, v5
	s_or_b64 s[0:1], s[2:3], s[0:1]
	v_addc_co_u32_e64 v5, s[0:1], 0, v5, s[0:1]
	v_cmp_gt_i32_e64 s[0:1], 31, v9
	v_lshrrev_b32_e32 v14, 16, v10
	v_cndmask_b32_e64 v11, v2, v5, s[0:1]
	v_mul_f16_sdwa v5, v44, v14 dst_sel:DWORD dst_unused:UNUSED_PAD src0_sel:WORD_1 src1_sel:DWORD
	v_fma_f16 v5, v44, v10, v5
	v_cvt_f32_f16_e32 v5, v5
	v_cmp_ne_u32_e64 s[0:1], 0, v3
	v_cndmask_b32_e64 v3, 0, 1, s[0:1]
	v_lshl_or_b32 v3, v3, 9, v2
	v_cvt_f64_f32_e32 v[5:6], v5
	v_cmp_eq_u32_e64 s[0:1], s14, v9
	v_cndmask_b32_e64 v3, v11, v3, s[0:1]
	v_lshrrev_b32_e32 v9, 16, v12
	v_mul_f64 v[5:6], v[5:6], s[12:13]
	v_and_or_b32 v3, v9, s15, v3
	v_and_b32_e32 v0, 0xffff, v0
	v_add_co_u32_e64 v7, s[0:1], s6, v7
	v_lshl_or_b32 v0, v3, 16, v0
	v_addc_co_u32_e64 v8, s[0:1], v8, v13, s[0:1]
	global_store_dword v[7:8], v0, off
	v_and_or_b32 v0, v6, s11, v5
	v_cmp_ne_u32_e64 s[0:1], 0, v0
	v_cndmask_b32_e64 v0, 0, 1, s[0:1]
	v_lshrrev_b32_e32 v3, 8, v6
	v_bfe_u32 v5, v6, 20, 11
	v_and_or_b32 v0, v3, s10, v0
	v_sub_u32_e32 v9, 0x3f1, v5
	v_or_b32_e32 v3, 0x1000, v0
	v_med3_i32 v9, v9, 0, 13
	v_lshrrev_b32_e32 v11, v9, v3
	v_lshlrev_b32_e32 v9, v9, v11
	v_mul_f16_sdwa v10, v44, v10 dst_sel:DWORD dst_unused:UNUSED_PAD src0_sel:WORD_1 src1_sel:DWORD
	v_cmp_ne_u32_e64 s[0:1], v9, v3
	v_fma_f16 v10, v44, v14, -v10
	v_cndmask_b32_e64 v3, 0, 1, s[0:1]
	v_add_u32_e32 v5, 0xfffffc10, v5
	v_cvt_f32_f16_e32 v10, v10
	v_or_b32_e32 v3, v11, v3
	v_lshl_or_b32 v9, v5, 12, v0
	v_cmp_gt_i32_e64 s[0:1], 1, v5
	v_cndmask_b32_e64 v3, v9, v3, s[0:1]
	v_and_b32_e32 v9, 7, v3
	v_cmp_lt_i32_e64 s[0:1], 5, v9
	v_cmp_eq_u32_e64 s[2:3], 3, v9
	v_cvt_f64_f32_e32 v[9:10], v10
	v_lshrrev_b32_e32 v3, 2, v3
	s_or_b64 s[0:1], s[2:3], s[0:1]
	v_addc_co_u32_e64 v3, s[0:1], 0, v3, s[0:1]
	v_mul_f64 v[9:10], v[9:10], s[12:13]
	v_cmp_gt_i32_e64 s[0:1], 31, v5
	v_cndmask_b32_e64 v3, v2, v3, s[0:1]
	v_cmp_ne_u32_e64 s[0:1], 0, v0
	v_cndmask_b32_e64 v0, 0, 1, s[0:1]
	v_lshl_or_b32 v0, v0, 9, v2
	v_cmp_eq_u32_e64 s[0:1], s14, v5
	v_cndmask_b32_e64 v0, v3, v0, s[0:1]
	v_lshrrev_b32_e32 v3, 16, v6
	v_and_or_b32 v0, v3, s15, v0
	v_and_or_b32 v3, v10, s11, v9
	v_cmp_ne_u32_e64 s[0:1], 0, v3
	v_cndmask_b32_e64 v3, 0, 1, s[0:1]
	v_lshrrev_b32_e32 v5, 8, v10
	v_and_or_b32 v9, v5, s10, v3
	v_bfe_u32 v5, v10, 20, 11
	v_sub_u32_e32 v6, 0x3f1, v5
	v_or_b32_e32 v3, 0x1000, v9
	v_med3_i32 v6, v6, 0, 13
	v_lshrrev_b32_e32 v11, v6, v3
	v_lshlrev_b32_e32 v6, v6, v11
	v_cmp_ne_u32_e64 s[0:1], v6, v3
	v_cndmask_b32_e64 v3, 0, 1, s[0:1]
	v_add_u32_e32 v14, 0xfffffc10, v5
	v_or_b32_e32 v3, v11, v3
	v_lshl_or_b32 v5, v14, 12, v9
	v_cmp_gt_i32_e64 s[0:1], 1, v14
	v_cndmask_b32_e64 v3, v5, v3, s[0:1]
	v_and_b32_e32 v5, 7, v3
	v_lshrrev_b32_e32 v11, 2, v3
	v_add_u32_e32 v3, 0x400, v40
	v_cmp_lt_i32_e64 s[0:1], 5, v5
	v_cmp_eq_u32_e64 s[2:3], 3, v5
	ds_read2_b32 v[5:6], v3 offset0:144 offset1:224
	s_or_b64 s[0:1], s[2:3], s[0:1]
	v_addc_co_u32_e64 v11, s[0:1], 0, v11, s[0:1]
	v_cmp_gt_i32_e64 s[0:1], 31, v14
	s_waitcnt lgkmcnt(0)
	v_lshrrev_b32_e32 v16, 16, v5
	v_cndmask_b32_e64 v15, v2, v11, s[0:1]
	v_mul_f16_sdwa v11, v43, v16 dst_sel:DWORD dst_unused:UNUSED_PAD src0_sel:WORD_1 src1_sel:DWORD
	v_fma_f16 v11, v43, v5, v11
	v_cvt_f32_f16_e32 v11, v11
	v_cmp_ne_u32_e64 s[0:1], 0, v9
	v_cndmask_b32_e64 v9, 0, 1, s[0:1]
	v_lshl_or_b32 v9, v9, 9, v2
	v_cvt_f64_f32_e32 v[11:12], v11
	v_cmp_eq_u32_e64 s[0:1], s14, v14
	v_cndmask_b32_e64 v9, v15, v9, s[0:1]
	v_lshrrev_b32_e32 v10, 16, v10
	v_and_or_b32 v14, v10, s15, v9
	v_mul_f64 v[9:10], v[11:12], s[12:13]
	v_and_b32_e32 v0, 0xffff, v0
	v_add_co_u32_e64 v7, s[0:1], s6, v7
	v_lshl_or_b32 v0, v14, 16, v0
	v_addc_co_u32_e64 v8, s[0:1], v8, v13, s[0:1]
	global_store_dword v[7:8], v0, off
	v_and_or_b32 v0, v10, s11, v9
	v_cmp_ne_u32_e64 s[0:1], 0, v0
	v_cndmask_b32_e64 v0, 0, 1, s[0:1]
	v_lshrrev_b32_e32 v9, 8, v10
	v_bfe_u32 v11, v10, 20, 11
	v_and_or_b32 v0, v9, s10, v0
	v_sub_u32_e32 v12, 0x3f1, v11
	v_or_b32_e32 v9, 0x1000, v0
	v_med3_i32 v12, v12, 0, 13
	v_lshrrev_b32_e32 v14, v12, v9
	v_lshlrev_b32_e32 v12, v12, v14
	v_cmp_ne_u32_e64 s[0:1], v12, v9
	v_mul_f16_sdwa v5, v43, v5 dst_sel:DWORD dst_unused:UNUSED_PAD src0_sel:WORD_1 src1_sel:DWORD
	v_cndmask_b32_e64 v9, 0, 1, s[0:1]
	v_fma_f16 v5, v43, v16, -v5
	v_or_b32_e32 v9, v14, v9
	v_add_u32_e32 v14, 0xfffffc10, v11
	v_cvt_f32_f16_e32 v5, v5
	v_lshl_or_b32 v11, v14, 12, v0
	v_cmp_gt_i32_e64 s[0:1], 1, v14
	v_cndmask_b32_e64 v9, v11, v9, s[0:1]
	v_and_b32_e32 v11, 7, v9
	v_cmp_lt_i32_e64 s[0:1], 5, v11
	v_cmp_eq_u32_e64 s[2:3], 3, v11
	v_cvt_f64_f32_e32 v[11:12], v5
	v_lshrrev_b32_e32 v9, 2, v9
	s_or_b64 s[0:1], s[2:3], s[0:1]
	v_addc_co_u32_e64 v5, s[0:1], 0, v9, s[0:1]
	v_mul_f64 v[11:12], v[11:12], s[12:13]
	v_cmp_gt_i32_e64 s[0:1], 31, v14
	v_cndmask_b32_e64 v5, v2, v5, s[0:1]
	v_cmp_ne_u32_e64 s[0:1], 0, v0
	v_cndmask_b32_e64 v0, 0, 1, s[0:1]
	v_lshl_or_b32 v0, v0, 9, v2
	v_cmp_eq_u32_e64 s[0:1], s14, v14
	v_cndmask_b32_e64 v0, v5, v0, s[0:1]
	v_lshrrev_b32_e32 v5, 16, v10
	v_and_or_b32 v0, v5, s15, v0
	v_and_or_b32 v5, v12, s11, v11
	v_cmp_ne_u32_e64 s[0:1], 0, v5
	v_cndmask_b32_e64 v5, 0, 1, s[0:1]
	v_lshrrev_b32_e32 v9, 8, v12
	v_bfe_u32 v10, v12, 20, 11
	v_and_or_b32 v5, v9, s10, v5
	v_sub_u32_e32 v11, 0x3f1, v10
	v_or_b32_e32 v9, 0x1000, v5
	v_med3_i32 v11, v11, 0, 13
	v_lshrrev_b32_e32 v14, v11, v9
	v_lshlrev_b32_e32 v11, v11, v14
	v_cmp_ne_u32_e64 s[0:1], v11, v9
	v_cndmask_b32_e64 v9, 0, 1, s[0:1]
	v_add_u32_e32 v11, 0xfffffc10, v10
	v_or_b32_e32 v9, v14, v9
	v_lshl_or_b32 v10, v11, 12, v5
	v_cmp_gt_i32_e64 s[0:1], 1, v11
	v_cndmask_b32_e64 v9, v10, v9, s[0:1]
	v_and_b32_e32 v10, 7, v9
	v_cmp_lt_i32_e64 s[0:1], 5, v10
	v_cmp_eq_u32_e64 s[2:3], 3, v10
	v_lshrrev_b32_e32 v9, 2, v9
	s_or_b64 s[0:1], s[2:3], s[0:1]
	v_addc_co_u32_e64 v9, s[0:1], 0, v9, s[0:1]
	v_cmp_gt_i32_e64 s[0:1], 31, v11
	v_lshrrev_b32_e32 v15, 16, v6
	v_cndmask_b32_e64 v14, v2, v9, s[0:1]
	v_mul_f16_sdwa v9, v42, v15 dst_sel:DWORD dst_unused:UNUSED_PAD src0_sel:WORD_1 src1_sel:DWORD
	v_fma_f16 v9, v42, v6, v9
	v_cvt_f32_f16_e32 v9, v9
	v_cmp_ne_u32_e64 s[0:1], 0, v5
	v_cndmask_b32_e64 v5, 0, 1, s[0:1]
	v_lshl_or_b32 v5, v5, 9, v2
	v_cvt_f64_f32_e32 v[9:10], v9
	v_cmp_eq_u32_e64 s[0:1], s14, v11
	v_cndmask_b32_e64 v5, v14, v5, s[0:1]
	v_lshrrev_b32_e32 v11, 16, v12
	v_mul_f64 v[9:10], v[9:10], s[12:13]
	v_and_or_b32 v5, v11, s15, v5
	v_and_b32_e32 v0, 0xffff, v0
	v_add_co_u32_e64 v7, s[0:1], s6, v7
	v_lshl_or_b32 v0, v5, 16, v0
	v_addc_co_u32_e64 v8, s[0:1], v8, v13, s[0:1]
	global_store_dword v[7:8], v0, off
	v_and_or_b32 v0, v10, s11, v9
	v_cmp_ne_u32_e64 s[0:1], 0, v0
	v_cndmask_b32_e64 v0, 0, 1, s[0:1]
	v_lshrrev_b32_e32 v5, 8, v10
	v_bfe_u32 v9, v10, 20, 11
	v_and_or_b32 v0, v5, s10, v0
	v_sub_u32_e32 v11, 0x3f1, v9
	v_or_b32_e32 v5, 0x1000, v0
	v_med3_i32 v11, v11, 0, 13
	v_lshrrev_b32_e32 v12, v11, v5
	v_lshlrev_b32_e32 v11, v11, v12
	v_mul_f16_sdwa v6, v42, v6 dst_sel:DWORD dst_unused:UNUSED_PAD src0_sel:WORD_1 src1_sel:DWORD
	v_cmp_ne_u32_e64 s[0:1], v11, v5
	v_fma_f16 v6, v42, v15, -v6
	v_cndmask_b32_e64 v5, 0, 1, s[0:1]
	v_add_u32_e32 v9, 0xfffffc10, v9
	v_cvt_f32_f16_e32 v6, v6
	v_or_b32_e32 v5, v12, v5
	v_lshl_or_b32 v11, v9, 12, v0
	v_cmp_gt_i32_e64 s[0:1], 1, v9
	v_cndmask_b32_e64 v5, v11, v5, s[0:1]
	v_and_b32_e32 v11, 7, v5
	v_cmp_lt_i32_e64 s[0:1], 5, v11
	v_cmp_eq_u32_e64 s[2:3], 3, v11
	v_lshrrev_b32_e32 v11, 2, v5
	v_cvt_f64_f32_e32 v[5:6], v6
	s_or_b64 s[0:1], s[2:3], s[0:1]
	v_addc_co_u32_e64 v11, s[0:1], 0, v11, s[0:1]
	v_mul_f64 v[5:6], v[5:6], s[12:13]
	v_cmp_gt_i32_e64 s[0:1], 31, v9
	v_cndmask_b32_e64 v11, v2, v11, s[0:1]
	v_cmp_ne_u32_e64 s[0:1], 0, v0
	v_cndmask_b32_e64 v0, 0, 1, s[0:1]
	v_lshl_or_b32 v0, v0, 9, v2
	v_cmp_eq_u32_e64 s[0:1], s14, v9
	v_cndmask_b32_e64 v0, v11, v0, s[0:1]
	v_and_or_b32 v5, v6, s11, v5
	v_lshrrev_b32_e32 v9, 16, v10
	v_cmp_ne_u32_e64 s[0:1], 0, v5
	v_and_or_b32 v0, v9, s15, v0
	v_cndmask_b32_e64 v5, 0, 1, s[0:1]
	v_lshrrev_b32_e32 v9, 8, v6
	v_bfe_u32 v10, v6, 20, 11
	v_and_or_b32 v5, v9, s10, v5
	v_sub_u32_e32 v11, 0x3f1, v10
	v_or_b32_e32 v9, 0x1000, v5
	v_med3_i32 v11, v11, 0, 13
	v_lshrrev_b32_e32 v12, v11, v9
	v_lshlrev_b32_e32 v11, v11, v12
	v_cmp_ne_u32_e64 s[0:1], v11, v9
	v_cndmask_b32_e64 v9, 0, 1, s[0:1]
	v_add_u32_e32 v11, 0xfffffc10, v10
	v_or_b32_e32 v9, v12, v9
	v_lshl_or_b32 v10, v11, 12, v5
	v_cmp_gt_i32_e64 s[0:1], 1, v11
	v_cndmask_b32_e64 v9, v10, v9, s[0:1]
	v_and_b32_e32 v10, 7, v9
	v_cmp_lt_i32_e64 s[0:1], 5, v10
	v_cmp_eq_u32_e64 s[2:3], 3, v10
	v_lshrrev_b32_e32 v9, 2, v9
	s_or_b64 s[0:1], s[2:3], s[0:1]
	v_addc_co_u32_e64 v9, s[0:1], 0, v9, s[0:1]
	v_cmp_gt_i32_e64 s[0:1], 31, v11
	v_lshrrev_b32_e32 v14, 16, v1
	v_cndmask_b32_e64 v12, v2, v9, s[0:1]
	v_mul_f16_sdwa v9, v41, v14 dst_sel:DWORD dst_unused:UNUSED_PAD src0_sel:WORD_1 src1_sel:DWORD
	v_fma_f16 v9, v41, v1, v9
	v_cvt_f32_f16_e32 v9, v9
	v_cmp_ne_u32_e64 s[0:1], 0, v5
	v_cndmask_b32_e64 v5, 0, 1, s[0:1]
	v_lshl_or_b32 v5, v5, 9, v2
	v_cvt_f64_f32_e32 v[9:10], v9
	v_cmp_eq_u32_e64 s[0:1], s14, v11
	v_cndmask_b32_e64 v5, v12, v5, s[0:1]
	v_lshrrev_b32_e32 v6, 16, v6
	v_and_or_b32 v11, v6, s15, v5
	v_mul_f64 v[5:6], v[9:10], s[12:13]
	v_and_b32_e32 v0, 0xffff, v0
	v_add_co_u32_e64 v7, s[0:1], s6, v7
	v_lshl_or_b32 v0, v11, 16, v0
	v_addc_co_u32_e64 v8, s[0:1], v8, v13, s[0:1]
	global_store_dword v[7:8], v0, off
	v_and_or_b32 v0, v6, s11, v5
	v_cmp_ne_u32_e64 s[0:1], 0, v0
	v_cndmask_b32_e64 v0, 0, 1, s[0:1]
	v_lshrrev_b32_e32 v5, 8, v6
	v_bfe_u32 v9, v6, 20, 11
	v_and_or_b32 v5, v5, s10, v0
	v_sub_u32_e32 v10, 0x3f1, v9
	v_or_b32_e32 v0, 0x1000, v5
	v_med3_i32 v10, v10, 0, 13
	v_lshrrev_b32_e32 v11, v10, v0
	v_lshlrev_b32_e32 v10, v10, v11
	v_mul_f16_sdwa v1, v41, v1 dst_sel:DWORD dst_unused:UNUSED_PAD src0_sel:WORD_1 src1_sel:DWORD
	v_cmp_ne_u32_e64 s[0:1], v10, v0
	v_fma_f16 v1, v41, v14, -v1
	v_cndmask_b32_e64 v0, 0, 1, s[0:1]
	v_add_u32_e32 v9, 0xfffffc10, v9
	v_cvt_f32_f16_e32 v1, v1
	v_or_b32_e32 v0, v11, v0
	v_lshl_or_b32 v10, v9, 12, v5
	v_cmp_gt_i32_e64 s[0:1], 1, v9
	v_cndmask_b32_e64 v0, v10, v0, s[0:1]
	v_and_b32_e32 v10, 7, v0
	v_cmp_lt_i32_e64 s[0:1], 5, v10
	v_cmp_eq_u32_e64 s[2:3], 3, v10
	v_lshrrev_b32_e32 v10, 2, v0
	v_cvt_f64_f32_e32 v[0:1], v1
	s_or_b64 s[0:1], s[2:3], s[0:1]
	v_addc_co_u32_e64 v10, s[0:1], 0, v10, s[0:1]
	v_mul_f64 v[0:1], v[0:1], s[12:13]
	v_cmp_gt_i32_e64 s[0:1], 31, v9
	v_cndmask_b32_e64 v10, v2, v10, s[0:1]
	v_cmp_ne_u32_e64 s[0:1], 0, v5
	v_cndmask_b32_e64 v5, 0, 1, s[0:1]
	v_lshl_or_b32 v5, v5, 9, v2
	v_cmp_eq_u32_e64 s[0:1], s14, v9
	v_cndmask_b32_e64 v5, v10, v5, s[0:1]
	v_and_or_b32 v0, v1, s11, v0
	v_lshrrev_b32_e32 v6, 16, v6
	v_cmp_ne_u32_e64 s[0:1], 0, v0
	v_and_or_b32 v5, v6, s15, v5
	v_cndmask_b32_e64 v0, 0, 1, s[0:1]
	v_lshrrev_b32_e32 v6, 8, v1
	v_bfe_u32 v9, v1, 20, 11
	v_and_or_b32 v0, v6, s10, v0
	v_sub_u32_e32 v10, 0x3f1, v9
	v_or_b32_e32 v6, 0x1000, v0
	v_med3_i32 v10, v10, 0, 13
	v_lshrrev_b32_e32 v11, v10, v6
	v_lshlrev_b32_e32 v10, v10, v11
	v_cmp_ne_u32_e64 s[0:1], v10, v6
	v_cndmask_b32_e64 v6, 0, 1, s[0:1]
	v_add_u32_e32 v9, 0xfffffc10, v9
	v_or_b32_e32 v6, v11, v6
	v_lshl_or_b32 v10, v9, 12, v0
	v_cmp_gt_i32_e64 s[0:1], 1, v9
	v_cndmask_b32_e64 v6, v10, v6, s[0:1]
	v_and_b32_e32 v10, 7, v6
	v_cmp_lt_i32_e64 s[0:1], 5, v10
	v_cmp_eq_u32_e64 s[2:3], 3, v10
	v_lshrrev_b32_e32 v6, 2, v6
	s_or_b64 s[0:1], s[2:3], s[0:1]
	v_addc_co_u32_e64 v6, s[0:1], 0, v6, s[0:1]
	v_cmp_gt_i32_e64 s[0:1], 31, v9
	v_cndmask_b32_e64 v6, v2, v6, s[0:1]
	v_cmp_ne_u32_e64 s[0:1], 0, v0
	v_cndmask_b32_e64 v0, 0, 1, s[0:1]
	v_lshl_or_b32 v0, v0, 9, v2
	v_cmp_eq_u32_e64 s[0:1], s14, v9
	v_cndmask_b32_e64 v0, v6, v0, s[0:1]
	v_lshrrev_b32_e32 v1, 16, v1
	v_and_or_b32 v0, v1, s15, v0
	v_and_b32_e32 v1, 0xffff, v5
	v_lshl_or_b32 v5, v0, 16, v1
	v_add_co_u32_e64 v0, s[0:1], s6, v7
	v_addc_co_u32_e64 v1, s[0:1], v8, v13, s[0:1]
	global_store_dword v[0:1], v5, off
	s_and_b64 exec, exec, vcc
	s_cbranch_execz .LBB0_23
; %bb.22:
	global_load_dword v7, v[23:24], off offset:256
	global_load_dword v13, v[23:24], off offset:576
	ds_read2_b32 v[5:6], v40 offset0:64 offset1:144
	global_load_dword v14, v[23:24], off offset:896
	global_load_dword v15, v[23:24], off offset:1216
	v_mov_b32_e32 v11, 0xfffff840
	v_mad_u64_u32 v[11:12], s[0:1], s8, v11, v[0:1]
	s_waitcnt lgkmcnt(0)
	v_lshrrev_b32_e32 v8, 16, v5
	v_lshrrev_b32_e32 v16, 16, v6
	s_mul_i32 s2, s9, 0xfffff840
	s_sub_i32 s0, s2, s8
	v_add_u32_e32 v12, s0, v12
	s_waitcnt vmcnt(3)
	v_mul_f16_sdwa v9, v8, v7 dst_sel:DWORD dst_unused:UNUSED_PAD src0_sel:DWORD src1_sel:WORD_1
	v_mul_f16_sdwa v10, v5, v7 dst_sel:DWORD dst_unused:UNUSED_PAD src0_sel:DWORD src1_sel:WORD_1
	v_fma_f16 v5, v5, v7, v9
	v_cvt_f32_f16_e32 v5, v5
	s_waitcnt vmcnt(2)
	v_mul_f16_sdwa v9, v16, v13 dst_sel:DWORD dst_unused:UNUSED_PAD src0_sel:DWORD src1_sel:WORD_1
	v_fma_f16 v7, v7, v8, -v10
	v_cvt_f32_f16_e32 v10, v7
	v_cvt_f64_f32_e32 v[7:8], v5
	v_fma_f16 v5, v6, v13, v9
	v_cvt_f32_f16_e32 v5, v5
	v_cvt_f64_f32_e32 v[9:10], v10
	v_mul_f64 v[7:8], v[7:8], s[12:13]
	v_mul_f16_sdwa v6, v6, v13 dst_sel:DWORD dst_unused:UNUSED_PAD src0_sel:DWORD src1_sel:WORD_1
	v_cvt_f64_f32_e32 v[0:1], v5
	v_mul_f64 v[9:10], v[9:10], s[12:13]
	v_fma_f16 v6, v13, v16, -v6
	v_cvt_f32_f16_e32 v6, v6
	v_mul_f64 v[0:1], v[0:1], s[12:13]
	v_and_or_b32 v5, v8, s11, v7
	v_cmp_ne_u32_e32 vcc, 0, v5
	v_lshrrev_b32_e32 v7, 8, v8
	v_and_or_b32 v9, v10, s11, v9
	v_bfe_u32 v17, v8, 20, 11
	v_cndmask_b32_e64 v5, 0, 1, vcc
	v_and_or_b32 v0, v1, s11, v0
	v_cmp_ne_u32_e32 vcc, 0, v9
	v_lshrrev_b32_e32 v18, 8, v10
	v_bfe_u32 v19, v10, 20, 11
	v_bfe_u32 v21, v1, 20, 11
	v_sub_u32_e32 v22, 0x3f1, v17
	v_cndmask_b32_e64 v9, 0, 1, vcc
	v_cmp_ne_u32_e32 vcc, 0, v0
	v_and_or_b32 v5, v7, s10, v5
	v_lshrrev_b32_e32 v20, 8, v1
	v_sub_u32_e32 v25, 0x3f1, v19
	v_cndmask_b32_e64 v0, 0, 1, vcc
	v_sub_u32_e32 v26, 0x3f1, v21
	v_med3_i32 v7, v22, 0, 13
	v_and_or_b32 v9, v18, s10, v9
	v_or_b32_e32 v22, 0x1000, v5
	v_add_u32_e32 v17, 0xfffffc10, v17
	v_med3_i32 v18, v25, 0, 13
	v_and_or_b32 v0, v20, s10, v0
	v_med3_i32 v20, v26, 0, 13
	v_cmp_ne_u32_e32 vcc, 0, v5
	v_or_b32_e32 v26, 0x1000, v9
	v_lshrrev_b32_e32 v30, v7, v22
	v_add_u32_e32 v19, 0xfffffc10, v19
	v_lshl_or_b32 v25, v17, 12, v5
	v_cndmask_b32_e64 v5, 0, 1, vcc
	v_cmp_ne_u32_e32 vcc, 0, v9
	v_or_b32_e32 v28, 0x1000, v0
	v_lshrrev_b32_e32 v31, v18, v26
	v_lshlrev_b32_e32 v7, v7, v30
	v_lshl_or_b32 v27, v19, 12, v9
	v_cndmask_b32_e64 v9, 0, 1, vcc
	v_lshrrev_b32_e32 v32, v20, v28
	v_lshlrev_b32_e32 v18, v18, v31
	v_cmp_ne_u32_e32 vcc, v7, v22
	v_lshlrev_b32_e32 v20, v20, v32
	v_cndmask_b32_e64 v7, 0, 1, vcc
	v_cmp_ne_u32_e32 vcc, v18, v26
	v_cndmask_b32_e64 v18, 0, 1, vcc
	v_cmp_ne_u32_e32 vcc, v20, v28
	v_cndmask_b32_e64 v20, 0, 1, vcc
	v_or_b32_e32 v7, v30, v7
	v_cmp_gt_i32_e32 vcc, 1, v17
	v_cndmask_b32_e32 v7, v25, v7, vcc
	v_or_b32_e32 v18, v31, v18
	v_cmp_gt_i32_e32 vcc, 1, v19
	v_and_b32_e32 v22, 7, v7
	v_cndmask_b32_e32 v18, v27, v18, vcc
	v_cmp_lt_i32_e32 vcc, 5, v22
	v_cmp_eq_u32_e64 s[0:1], 3, v22
	v_lshrrev_b32_e32 v7, 2, v7
	v_and_b32_e32 v25, 7, v18
	s_or_b64 vcc, s[0:1], vcc
	v_cmp_lt_i32_e64 s[2:3], 5, v25
	v_cmp_eq_u32_e64 s[4:5], 3, v25
	v_addc_co_u32_e32 v7, vcc, 0, v7, vcc
	v_lshrrev_b32_e32 v18, 2, v18
	s_or_b64 vcc, s[4:5], s[2:3]
	v_addc_co_u32_e32 v18, vcc, 0, v18, vcc
	v_cmp_gt_i32_e32 vcc, 31, v17
	v_cndmask_b32_e32 v7, v2, v7, vcc
	v_cmp_gt_i32_e32 vcc, 31, v19
	v_lshl_or_b32 v5, v5, 9, v2
	v_cndmask_b32_e32 v18, v2, v18, vcc
	v_cmp_eq_u32_e32 vcc, s14, v17
	v_lshrrev_b32_e32 v8, 16, v8
	v_lshl_or_b32 v9, v9, 9, v2
	v_cndmask_b32_e32 v5, v7, v5, vcc
	v_cmp_eq_u32_e32 vcc, s14, v19
	v_lshrrev_b32_e32 v10, 16, v10
	v_cndmask_b32_e32 v7, v18, v9, vcc
	v_and_or_b32 v5, v8, s15, v5
	v_add_u32_e32 v21, 0xfffffc10, v21
	v_and_or_b32 v7, v10, s15, v7
	v_and_b32_e32 v5, 0xffff, v5
	v_lshl_or_b32 v29, v21, 12, v0
	v_or_b32_e32 v20, v32, v20
	v_lshl_or_b32 v5, v7, 16, v5
	v_cmp_gt_i32_e32 vcc, 1, v21
	global_store_dword v[11:12], v5, off
	v_cndmask_b32_e32 v5, v29, v20, vcc
	v_and_b32_e32 v7, 7, v5
	v_cmp_lt_i32_e32 vcc, 5, v7
	v_cmp_eq_u32_e64 s[0:1], 3, v7
	v_lshrrev_b32_e32 v7, 2, v5
	v_cvt_f64_f32_e32 v[5:6], v6
	s_or_b64 vcc, s[0:1], vcc
	v_addc_co_u32_e32 v7, vcc, 0, v7, vcc
	v_mul_f64 v[5:6], v[5:6], s[12:13]
	v_cmp_gt_i32_e32 vcc, 31, v21
	v_cndmask_b32_e32 v7, v2, v7, vcc
	v_cmp_ne_u32_e32 vcc, 0, v0
	v_cndmask_b32_e64 v0, 0, 1, vcc
	v_lshl_or_b32 v0, v0, 9, v2
	v_cmp_eq_u32_e32 vcc, s14, v21
	v_cndmask_b32_e32 v0, v7, v0, vcc
	v_lshrrev_b32_e32 v1, 16, v1
	v_and_or_b32 v7, v1, s15, v0
	v_and_or_b32 v0, v6, s11, v5
	v_cmp_ne_u32_e32 vcc, 0, v0
	v_cndmask_b32_e64 v0, 0, 1, vcc
	v_lshrrev_b32_e32 v1, 8, v6
	v_bfe_u32 v5, v6, 20, 11
	v_and_or_b32 v0, v1, s10, v0
	v_sub_u32_e32 v8, 0x3f1, v5
	v_or_b32_e32 v1, 0x1000, v0
	v_med3_i32 v8, v8, 0, 13
	v_lshrrev_b32_e32 v9, v8, v1
	v_lshlrev_b32_e32 v8, v8, v9
	v_cmp_ne_u32_e32 vcc, v8, v1
	v_cndmask_b32_e64 v1, 0, 1, vcc
	v_add_u32_e32 v8, 0xfffffc10, v5
	v_or_b32_e32 v1, v9, v1
	v_lshl_or_b32 v5, v8, 12, v0
	v_cmp_gt_i32_e32 vcc, 1, v8
	v_cndmask_b32_e32 v1, v5, v1, vcc
	v_and_b32_e32 v5, 7, v1
	v_cmp_lt_i32_e32 vcc, 5, v5
	v_cmp_eq_u32_e64 s[0:1], 3, v5
	ds_read2_b32 v[4:5], v4 offset0:96 offset1:176
	v_lshrrev_b32_e32 v1, 2, v1
	s_or_b64 vcc, s[0:1], vcc
	v_addc_co_u32_e32 v1, vcc, 0, v1, vcc
	s_waitcnt lgkmcnt(0)
	v_lshrrev_b32_e32 v10, 16, v4
	s_waitcnt vmcnt(2)
	v_mul_f16_sdwa v9, v10, v14 dst_sel:DWORD dst_unused:UNUSED_PAD src0_sel:DWORD src1_sel:WORD_1
	v_fma_f16 v9, v4, v14, v9
	v_cmp_gt_i32_e32 vcc, 31, v8
	v_cvt_f32_f16_e32 v9, v9
	v_cndmask_b32_e32 v1, v2, v1, vcc
	v_cmp_ne_u32_e32 vcc, 0, v0
	v_cndmask_b32_e64 v0, 0, 1, vcc
	v_lshl_or_b32 v0, v0, 9, v2
	v_cmp_eq_u32_e32 vcc, s14, v8
	v_cndmask_b32_e32 v8, v1, v0, vcc
	v_cvt_f64_f32_e32 v[0:1], v9
	v_lshrrev_b32_e32 v6, 16, v6
	v_and_or_b32 v8, v6, s15, v8
	v_and_b32_e32 v9, 0xffff, v7
	v_mul_f64 v[6:7], v[0:1], s[12:13]
	v_lshl_or_b32 v1, v8, 16, v9
	v_mov_b32_e32 v0, s7
	v_add_co_u32_e32 v8, vcc, s6, v11
	v_addc_co_u32_e32 v9, vcc, v12, v0, vcc
	global_store_dword v[8:9], v1, off
	v_and_or_b32 v1, v7, s11, v6
	v_cmp_ne_u32_e32 vcc, 0, v1
	v_cndmask_b32_e64 v1, 0, 1, vcc
	v_lshrrev_b32_e32 v6, 8, v7
	v_bfe_u32 v11, v7, 20, 11
	v_and_or_b32 v1, v6, s10, v1
	v_sub_u32_e32 v12, 0x3f1, v11
	v_or_b32_e32 v6, 0x1000, v1
	v_med3_i32 v12, v12, 0, 13
	v_lshrrev_b32_e32 v13, v12, v6
	v_lshlrev_b32_e32 v12, v12, v13
	v_mul_f16_sdwa v4, v4, v14 dst_sel:DWORD dst_unused:UNUSED_PAD src0_sel:DWORD src1_sel:WORD_1
	v_cmp_ne_u32_e32 vcc, v12, v6
	v_fma_f16 v4, v14, v10, -v4
	v_cndmask_b32_e64 v6, 0, 1, vcc
	v_add_u32_e32 v12, 0xfffffc10, v11
	v_cvt_f32_f16_e32 v4, v4
	v_or_b32_e32 v6, v13, v6
	v_lshl_or_b32 v11, v12, 12, v1
	v_cmp_gt_i32_e32 vcc, 1, v12
	v_cndmask_b32_e32 v6, v11, v6, vcc
	v_and_b32_e32 v11, 7, v6
	v_cmp_lt_i32_e32 vcc, 5, v11
	v_cmp_eq_u32_e64 s[0:1], 3, v11
	v_cvt_f64_f32_e32 v[10:11], v4
	v_lshrrev_b32_e32 v6, 2, v6
	s_or_b64 vcc, s[0:1], vcc
	v_addc_co_u32_e32 v4, vcc, 0, v6, vcc
	v_mul_f64 v[10:11], v[10:11], s[12:13]
	v_cmp_gt_i32_e32 vcc, 31, v12
	v_cndmask_b32_e32 v4, v2, v4, vcc
	v_cmp_ne_u32_e32 vcc, 0, v1
	v_cndmask_b32_e64 v1, 0, 1, vcc
	v_lshl_or_b32 v1, v1, 9, v2
	v_cmp_eq_u32_e32 vcc, s14, v12
	v_cndmask_b32_e32 v1, v4, v1, vcc
	v_lshrrev_b32_e32 v4, 16, v7
	v_and_or_b32 v1, v4, s15, v1
	v_and_or_b32 v4, v11, s11, v10
	v_cmp_ne_u32_e32 vcc, 0, v4
	v_cndmask_b32_e64 v4, 0, 1, vcc
	v_lshrrev_b32_e32 v6, 8, v11
	v_bfe_u32 v7, v11, 20, 11
	v_and_or_b32 v4, v6, s10, v4
	v_sub_u32_e32 v10, 0x3f1, v7
	v_or_b32_e32 v6, 0x1000, v4
	v_med3_i32 v10, v10, 0, 13
	v_lshrrev_b32_e32 v12, v10, v6
	v_lshlrev_b32_e32 v10, v10, v12
	v_cmp_ne_u32_e32 vcc, v10, v6
	v_cndmask_b32_e64 v6, 0, 1, vcc
	v_add_u32_e32 v10, 0xfffffc10, v7
	v_or_b32_e32 v6, v12, v6
	v_lshl_or_b32 v7, v10, 12, v4
	v_cmp_gt_i32_e32 vcc, 1, v10
	v_cndmask_b32_e32 v6, v7, v6, vcc
	v_and_b32_e32 v7, 7, v6
	v_cmp_lt_i32_e32 vcc, 5, v7
	v_cmp_eq_u32_e64 s[0:1], 3, v7
	v_lshrrev_b32_e32 v6, 2, v6
	s_or_b64 vcc, s[0:1], vcc
	v_addc_co_u32_e32 v6, vcc, 0, v6, vcc
	v_cmp_gt_i32_e32 vcc, 31, v10
	v_lshrrev_b32_e32 v13, 16, v5
	v_cndmask_b32_e32 v12, v2, v6, vcc
	s_waitcnt vmcnt(2)
	v_mul_f16_sdwa v6, v13, v15 dst_sel:DWORD dst_unused:UNUSED_PAD src0_sel:DWORD src1_sel:WORD_1
	v_fma_f16 v6, v5, v15, v6
	v_cvt_f32_f16_e32 v6, v6
	v_cmp_ne_u32_e32 vcc, 0, v4
	v_cndmask_b32_e64 v4, 0, 1, vcc
	v_lshl_or_b32 v4, v4, 9, v2
	v_cvt_f64_f32_e32 v[6:7], v6
	v_cmp_eq_u32_e32 vcc, s14, v10
	v_cndmask_b32_e32 v4, v12, v4, vcc
	v_lshrrev_b32_e32 v10, 16, v11
	v_mul_f64 v[6:7], v[6:7], s[12:13]
	v_and_or_b32 v4, v10, s15, v4
	v_and_b32_e32 v1, 0xffff, v1
	v_add_co_u32_e32 v8, vcc, s6, v8
	v_lshl_or_b32 v1, v4, 16, v1
	v_addc_co_u32_e32 v9, vcc, v9, v0, vcc
	global_store_dword v[8:9], v1, off
	v_and_or_b32 v1, v7, s11, v6
	v_cmp_ne_u32_e32 vcc, 0, v1
	v_cndmask_b32_e64 v1, 0, 1, vcc
	v_lshrrev_b32_e32 v4, 8, v7
	v_bfe_u32 v6, v7, 20, 11
	v_and_or_b32 v1, v4, s10, v1
	v_sub_u32_e32 v10, 0x3f1, v6
	v_or_b32_e32 v4, 0x1000, v1
	v_med3_i32 v10, v10, 0, 13
	v_lshrrev_b32_e32 v11, v10, v4
	v_lshlrev_b32_e32 v10, v10, v11
	v_mul_f16_sdwa v5, v5, v15 dst_sel:DWORD dst_unused:UNUSED_PAD src0_sel:DWORD src1_sel:WORD_1
	v_cmp_ne_u32_e32 vcc, v10, v4
	v_fma_f16 v5, v15, v13, -v5
	v_cndmask_b32_e64 v4, 0, 1, vcc
	v_add_u32_e32 v6, 0xfffffc10, v6
	v_cvt_f32_f16_e32 v5, v5
	v_or_b32_e32 v4, v11, v4
	v_lshl_or_b32 v10, v6, 12, v1
	v_cmp_gt_i32_e32 vcc, 1, v6
	v_cndmask_b32_e32 v4, v10, v4, vcc
	v_and_b32_e32 v10, 7, v4
	v_cmp_lt_i32_e32 vcc, 5, v10
	v_cmp_eq_u32_e64 s[0:1], 3, v10
	v_lshrrev_b32_e32 v10, 2, v4
	v_cvt_f64_f32_e32 v[4:5], v5
	s_or_b64 vcc, s[0:1], vcc
	v_addc_co_u32_e32 v10, vcc, 0, v10, vcc
	v_mul_f64 v[4:5], v[4:5], s[12:13]
	v_cmp_gt_i32_e32 vcc, 31, v6
	v_cndmask_b32_e32 v10, v2, v10, vcc
	v_cmp_ne_u32_e32 vcc, 0, v1
	v_cndmask_b32_e64 v1, 0, 1, vcc
	v_lshl_or_b32 v1, v1, 9, v2
	v_cmp_eq_u32_e32 vcc, s14, v6
	v_cndmask_b32_e32 v1, v10, v1, vcc
	v_and_or_b32 v4, v5, s11, v4
	v_lshrrev_b32_e32 v6, 16, v7
	v_cmp_ne_u32_e32 vcc, 0, v4
	v_and_or_b32 v1, v6, s15, v1
	v_cndmask_b32_e64 v4, 0, 1, vcc
	v_lshrrev_b32_e32 v6, 8, v5
	v_bfe_u32 v7, v5, 20, 11
	v_and_or_b32 v4, v6, s10, v4
	v_sub_u32_e32 v10, 0x3f1, v7
	v_or_b32_e32 v6, 0x1000, v4
	v_med3_i32 v10, v10, 0, 13
	v_lshrrev_b32_e32 v11, v10, v6
	v_lshlrev_b32_e32 v10, v10, v11
	v_cmp_ne_u32_e32 vcc, v10, v6
	v_cndmask_b32_e64 v6, 0, 1, vcc
	v_add_u32_e32 v7, 0xfffffc10, v7
	v_or_b32_e32 v6, v11, v6
	v_lshl_or_b32 v10, v7, 12, v4
	v_cmp_gt_i32_e32 vcc, 1, v7
	v_cndmask_b32_e32 v6, v10, v6, vcc
	v_and_b32_e32 v10, 7, v6
	v_cmp_lt_i32_e32 vcc, 5, v10
	v_cmp_eq_u32_e64 s[0:1], 3, v10
	v_lshrrev_b32_e32 v6, 2, v6
	s_or_b64 vcc, s[0:1], vcc
	v_addc_co_u32_e32 v6, vcc, 0, v6, vcc
	v_cmp_gt_i32_e32 vcc, 31, v7
	v_cndmask_b32_e32 v6, v2, v6, vcc
	v_cmp_ne_u32_e32 vcc, 0, v4
	v_cndmask_b32_e64 v4, 0, 1, vcc
	v_lshl_or_b32 v4, v4, 9, v2
	v_cmp_eq_u32_e32 vcc, s14, v7
	v_cndmask_b32_e32 v4, v6, v4, vcc
	v_lshrrev_b32_e32 v5, 16, v5
	v_and_or_b32 v4, v5, s15, v4
	v_and_b32_e32 v1, 0xffff, v1
	v_lshl_or_b32 v1, v4, 16, v1
	v_add_co_u32_e32 v4, vcc, s6, v8
	v_addc_co_u32_e32 v5, vcc, v9, v0, vcc
	global_store_dword v[4:5], v1, off
	global_load_dword v1, v[23:24], off offset:1536
	ds_read2_b32 v[6:7], v3 offset0:128 offset1:208
	s_waitcnt lgkmcnt(0)
	v_lshrrev_b32_e32 v3, 16, v6
	s_waitcnt vmcnt(0)
	v_mul_f16_sdwa v8, v3, v1 dst_sel:DWORD dst_unused:UNUSED_PAD src0_sel:DWORD src1_sel:WORD_1
	v_fma_f16 v8, v6, v1, v8
	v_cvt_f32_f16_e32 v8, v8
	v_mul_f16_sdwa v6, v6, v1 dst_sel:DWORD dst_unused:UNUSED_PAD src0_sel:DWORD src1_sel:WORD_1
	v_fma_f16 v1, v1, v3, -v6
	v_cvt_f32_f16_e32 v1, v1
	v_cvt_f64_f32_e32 v[8:9], v8
	v_mul_f64 v[8:9], v[8:9], s[12:13]
	v_and_or_b32 v8, v9, s11, v8
	v_cmp_ne_u32_e32 vcc, 0, v8
	v_cndmask_b32_e64 v8, 0, 1, vcc
	v_lshrrev_b32_e32 v10, 8, v9
	v_bfe_u32 v11, v9, 20, 11
	v_and_or_b32 v8, v10, s10, v8
	v_sub_u32_e32 v12, 0x3f1, v11
	v_or_b32_e32 v10, 0x1000, v8
	v_med3_i32 v12, v12, 0, 13
	v_lshrrev_b32_e32 v13, v12, v10
	v_lshlrev_b32_e32 v12, v12, v13
	v_cmp_ne_u32_e32 vcc, v12, v10
	v_cndmask_b32_e64 v10, 0, 1, vcc
	v_add_u32_e32 v12, 0xfffffc10, v11
	v_or_b32_e32 v10, v13, v10
	v_lshl_or_b32 v11, v12, 12, v8
	v_cmp_gt_i32_e32 vcc, 1, v12
	v_cndmask_b32_e32 v10, v11, v10, vcc
	v_and_b32_e32 v11, 7, v10
	v_cmp_lt_i32_e32 vcc, 5, v11
	v_cmp_eq_u32_e64 s[0:1], 3, v11
	v_lshrrev_b32_e32 v3, 2, v10
	v_cvt_f64_f32_e32 v[10:11], v1
	s_or_b64 vcc, s[0:1], vcc
	v_addc_co_u32_e32 v1, vcc, 0, v3, vcc
	v_mul_f64 v[10:11], v[10:11], s[12:13]
	v_cmp_gt_i32_e32 vcc, 31, v12
	v_cndmask_b32_e32 v1, v2, v1, vcc
	v_cmp_ne_u32_e32 vcc, 0, v8
	v_cndmask_b32_e64 v3, 0, 1, vcc
	v_lshl_or_b32 v3, v3, 9, v2
	v_cmp_eq_u32_e32 vcc, s14, v12
	v_cndmask_b32_e32 v1, v1, v3, vcc
	v_lshrrev_b32_e32 v3, 16, v9
	v_and_or_b32 v1, v3, s15, v1
	v_and_or_b32 v3, v11, s11, v10
	v_cmp_ne_u32_e32 vcc, 0, v3
	v_cndmask_b32_e64 v3, 0, 1, vcc
	v_lshrrev_b32_e32 v6, 8, v11
	v_bfe_u32 v8, v11, 20, 11
	v_and_or_b32 v3, v6, s10, v3
	v_sub_u32_e32 v9, 0x3f1, v8
	v_or_b32_e32 v6, 0x1000, v3
	v_med3_i32 v9, v9, 0, 13
	v_lshrrev_b32_e32 v10, v9, v6
	v_lshlrev_b32_e32 v9, v9, v10
	v_cmp_ne_u32_e32 vcc, v9, v6
	v_cndmask_b32_e64 v6, 0, 1, vcc
	v_add_u32_e32 v8, 0xfffffc10, v8
	v_or_b32_e32 v6, v10, v6
	v_lshl_or_b32 v9, v8, 12, v3
	v_cmp_gt_i32_e32 vcc, 1, v8
	v_cndmask_b32_e32 v6, v9, v6, vcc
	v_and_b32_e32 v9, 7, v6
	v_cmp_lt_i32_e32 vcc, 5, v9
	v_cmp_eq_u32_e64 s[0:1], 3, v9
	v_lshrrev_b32_e32 v6, 2, v6
	s_or_b64 vcc, s[0:1], vcc
	v_addc_co_u32_e32 v6, vcc, 0, v6, vcc
	v_cmp_gt_i32_e32 vcc, 31, v8
	v_cndmask_b32_e32 v6, v2, v6, vcc
	v_cmp_ne_u32_e32 vcc, 0, v3
	v_cndmask_b32_e64 v3, 0, 1, vcc
	v_lshl_or_b32 v3, v3, 9, v2
	v_cmp_eq_u32_e32 vcc, s14, v8
	v_cndmask_b32_e32 v3, v6, v3, vcc
	v_lshrrev_b32_e32 v6, 16, v11
	v_and_or_b32 v3, v6, s15, v3
	v_and_b32_e32 v1, 0xffff, v1
	v_lshl_or_b32 v1, v3, 16, v1
	v_add_co_u32_e32 v3, vcc, s6, v4
	v_addc_co_u32_e32 v4, vcc, v5, v0, vcc
	global_store_dword v[3:4], v1, off
	global_load_dword v1, v[23:24], off offset:1856
	v_lshrrev_b32_e32 v8, 16, v7
	s_waitcnt vmcnt(0)
	v_mul_f16_sdwa v5, v8, v1 dst_sel:DWORD dst_unused:UNUSED_PAD src0_sel:DWORD src1_sel:WORD_1
	v_fma_f16 v5, v7, v1, v5
	v_cvt_f32_f16_e32 v5, v5
	v_mul_f16_sdwa v7, v7, v1 dst_sel:DWORD dst_unused:UNUSED_PAD src0_sel:DWORD src1_sel:WORD_1
	v_fma_f16 v1, v1, v8, -v7
	v_cvt_f32_f16_e32 v1, v1
	v_cvt_f64_f32_e32 v[5:6], v5
	v_cvt_f64_f32_e32 v[7:8], v1
	v_mul_f64 v[5:6], v[5:6], s[12:13]
	v_mul_f64 v[7:8], v[7:8], s[12:13]
	v_and_or_b32 v5, v6, s11, v5
	v_cmp_ne_u32_e32 vcc, 0, v5
	v_cndmask_b32_e64 v5, 0, 1, vcc
	v_lshrrev_b32_e32 v9, 8, v6
	v_bfe_u32 v10, v6, 20, 11
	v_and_or_b32 v5, v9, s10, v5
	v_sub_u32_e32 v11, 0x3f1, v10
	v_or_b32_e32 v9, 0x1000, v5
	v_med3_i32 v11, v11, 0, 13
	v_lshrrev_b32_e32 v12, v11, v9
	v_lshlrev_b32_e32 v11, v11, v12
	v_cmp_ne_u32_e32 vcc, v11, v9
	v_cndmask_b32_e64 v9, 0, 1, vcc
	v_add_u32_e32 v10, 0xfffffc10, v10
	v_or_b32_e32 v9, v12, v9
	v_lshl_or_b32 v11, v10, 12, v5
	v_cmp_gt_i32_e32 vcc, 1, v10
	v_cndmask_b32_e32 v9, v11, v9, vcc
	v_and_b32_e32 v11, 7, v9
	v_cmp_lt_i32_e32 vcc, 5, v11
	v_cmp_eq_u32_e64 s[0:1], 3, v11
	v_lshrrev_b32_e32 v9, 2, v9
	s_or_b64 vcc, s[0:1], vcc
	v_addc_co_u32_e32 v1, vcc, 0, v9, vcc
	v_cmp_gt_i32_e32 vcc, 31, v10
	v_cndmask_b32_e32 v1, v2, v1, vcc
	v_cmp_ne_u32_e32 vcc, 0, v5
	v_cndmask_b32_e64 v5, 0, 1, vcc
	v_lshl_or_b32 v5, v5, 9, v2
	v_cmp_eq_u32_e32 vcc, s14, v10
	v_cndmask_b32_e32 v1, v1, v5, vcc
	v_lshrrev_b32_e32 v5, 16, v6
	v_and_or_b32 v1, v5, s15, v1
	v_and_or_b32 v5, v8, s11, v7
	v_cmp_ne_u32_e32 vcc, 0, v5
	v_cndmask_b32_e64 v5, 0, 1, vcc
	v_lshrrev_b32_e32 v6, 8, v8
	v_bfe_u32 v7, v8, 20, 11
	v_and_or_b32 v5, v6, s10, v5
	v_sub_u32_e32 v9, 0x3f1, v7
	v_or_b32_e32 v6, 0x1000, v5
	v_med3_i32 v9, v9, 0, 13
	v_lshrrev_b32_e32 v10, v9, v6
	v_lshlrev_b32_e32 v9, v9, v10
	v_cmp_ne_u32_e32 vcc, v9, v6
	v_cndmask_b32_e64 v6, 0, 1, vcc
	v_add_u32_e32 v7, 0xfffffc10, v7
	v_or_b32_e32 v6, v10, v6
	v_lshl_or_b32 v9, v7, 12, v5
	v_cmp_gt_i32_e32 vcc, 1, v7
	v_cndmask_b32_e32 v6, v9, v6, vcc
	v_and_b32_e32 v9, 7, v6
	v_cmp_lt_i32_e32 vcc, 5, v9
	v_cmp_eq_u32_e64 s[0:1], 3, v9
	v_lshrrev_b32_e32 v6, 2, v6
	s_or_b64 vcc, s[0:1], vcc
	v_addc_co_u32_e32 v6, vcc, 0, v6, vcc
	v_cmp_gt_i32_e32 vcc, 31, v7
	v_cndmask_b32_e32 v6, v2, v6, vcc
	v_cmp_ne_u32_e32 vcc, 0, v5
	v_cndmask_b32_e64 v5, 0, 1, vcc
	v_lshl_or_b32 v5, v5, 9, v2
	v_cmp_eq_u32_e32 vcc, s14, v7
	v_cndmask_b32_e32 v5, v6, v5, vcc
	v_lshrrev_b32_e32 v6, 16, v8
	v_and_or_b32 v5, v6, s15, v5
	v_and_b32_e32 v1, 0xffff, v1
	v_add_co_u32_e32 v3, vcc, s6, v3
	v_lshl_or_b32 v1, v5, 16, v1
	v_addc_co_u32_e32 v4, vcc, v4, v0, vcc
	global_store_dword v[3:4], v1, off
	global_load_dword v1, v[23:24], off offset:2176
	v_add_u32_e32 v5, 0x800, v40
	ds_read2_b32 v[5:6], v5 offset0:32 offset1:112
	s_waitcnt lgkmcnt(0)
	v_lshrrev_b32_e32 v9, 16, v5
	s_waitcnt vmcnt(0)
	v_mul_f16_sdwa v7, v9, v1 dst_sel:DWORD dst_unused:UNUSED_PAD src0_sel:DWORD src1_sel:WORD_1
	v_fma_f16 v7, v5, v1, v7
	v_cvt_f32_f16_e32 v7, v7
	v_mul_f16_sdwa v5, v5, v1 dst_sel:DWORD dst_unused:UNUSED_PAD src0_sel:DWORD src1_sel:WORD_1
	v_fma_f16 v1, v1, v9, -v5
	v_cvt_f32_f16_e32 v1, v1
	v_cvt_f64_f32_e32 v[7:8], v7
	v_mul_f64 v[7:8], v[7:8], s[12:13]
	v_and_or_b32 v7, v8, s11, v7
	v_cmp_ne_u32_e32 vcc, 0, v7
	v_cndmask_b32_e64 v7, 0, 1, vcc
	v_lshrrev_b32_e32 v10, 8, v8
	v_bfe_u32 v11, v8, 20, 11
	v_and_or_b32 v7, v10, s10, v7
	v_sub_u32_e32 v12, 0x3f1, v11
	v_or_b32_e32 v10, 0x1000, v7
	v_med3_i32 v12, v12, 0, 13
	v_lshrrev_b32_e32 v13, v12, v10
	v_lshlrev_b32_e32 v12, v12, v13
	v_cmp_ne_u32_e32 vcc, v12, v10
	v_cndmask_b32_e64 v10, 0, 1, vcc
	v_add_u32_e32 v11, 0xfffffc10, v11
	v_or_b32_e32 v10, v13, v10
	v_lshl_or_b32 v12, v11, 12, v7
	v_cmp_gt_i32_e32 vcc, 1, v11
	v_cndmask_b32_e32 v10, v12, v10, vcc
	v_and_b32_e32 v12, 7, v10
	v_lshrrev_b32_e32 v5, 2, v10
	v_cvt_f64_f32_e32 v[9:10], v1
	v_cmp_lt_i32_e32 vcc, 5, v12
	v_cmp_eq_u32_e64 s[0:1], 3, v12
	s_or_b64 vcc, s[0:1], vcc
	v_mul_f64 v[9:10], v[9:10], s[12:13]
	v_addc_co_u32_e32 v1, vcc, 0, v5, vcc
	v_cmp_gt_i32_e32 vcc, 31, v11
	v_cndmask_b32_e32 v1, v2, v1, vcc
	v_cmp_ne_u32_e32 vcc, 0, v7
	v_cndmask_b32_e64 v5, 0, 1, vcc
	v_lshl_or_b32 v5, v5, 9, v2
	v_cmp_eq_u32_e32 vcc, s14, v11
	v_cndmask_b32_e32 v1, v1, v5, vcc
	v_lshrrev_b32_e32 v5, 16, v8
	v_and_or_b32 v1, v5, s15, v1
	v_and_or_b32 v5, v10, s11, v9
	v_cmp_ne_u32_e32 vcc, 0, v5
	v_cndmask_b32_e64 v5, 0, 1, vcc
	v_lshrrev_b32_e32 v7, 8, v10
	v_bfe_u32 v8, v10, 20, 11
	v_and_or_b32 v5, v7, s10, v5
	v_sub_u32_e32 v9, 0x3f1, v8
	v_or_b32_e32 v7, 0x1000, v5
	v_med3_i32 v9, v9, 0, 13
	v_lshrrev_b32_e32 v11, v9, v7
	v_lshlrev_b32_e32 v9, v9, v11
	v_cmp_ne_u32_e32 vcc, v9, v7
	v_cndmask_b32_e64 v7, 0, 1, vcc
	v_add_u32_e32 v8, 0xfffffc10, v8
	v_or_b32_e32 v7, v11, v7
	v_lshl_or_b32 v9, v8, 12, v5
	v_cmp_gt_i32_e32 vcc, 1, v8
	v_cndmask_b32_e32 v7, v9, v7, vcc
	v_and_b32_e32 v9, 7, v7
	v_cmp_lt_i32_e32 vcc, 5, v9
	v_cmp_eq_u32_e64 s[0:1], 3, v9
	v_lshrrev_b32_e32 v7, 2, v7
	s_or_b64 vcc, s[0:1], vcc
	v_addc_co_u32_e32 v7, vcc, 0, v7, vcc
	v_cmp_gt_i32_e32 vcc, 31, v8
	v_cndmask_b32_e32 v7, v2, v7, vcc
	v_cmp_ne_u32_e32 vcc, 0, v5
	v_cndmask_b32_e64 v5, 0, 1, vcc
	v_lshl_or_b32 v5, v5, 9, v2
	v_cmp_eq_u32_e32 vcc, s14, v8
	v_cndmask_b32_e32 v5, v7, v5, vcc
	v_lshrrev_b32_e32 v7, 16, v10
	v_and_or_b32 v5, v7, s15, v5
	v_and_b32_e32 v1, 0xffff, v1
	v_add_co_u32_e32 v3, vcc, s6, v3
	v_lshl_or_b32 v1, v5, 16, v1
	v_addc_co_u32_e32 v4, vcc, v4, v0, vcc
	global_store_dword v[3:4], v1, off
	global_load_dword v1, v[23:24], off offset:2496
	v_lshrrev_b32_e32 v5, 16, v6
	s_waitcnt vmcnt(0)
	v_mul_f16_sdwa v7, v5, v1 dst_sel:DWORD dst_unused:UNUSED_PAD src0_sel:DWORD src1_sel:WORD_1
	v_fma_f16 v7, v6, v1, v7
	v_cvt_f32_f16_e32 v7, v7
	v_mul_f16_sdwa v6, v6, v1 dst_sel:DWORD dst_unused:UNUSED_PAD src0_sel:DWORD src1_sel:WORD_1
	v_fma_f16 v1, v1, v5, -v6
	v_cvt_f32_f16_e32 v1, v1
	v_cvt_f64_f32_e32 v[7:8], v7
	v_cvt_f64_f32_e32 v[5:6], v1
	v_mul_f64 v[7:8], v[7:8], s[12:13]
	v_mul_f64 v[5:6], v[5:6], s[12:13]
	v_and_or_b32 v7, v8, s11, v7
	v_cmp_ne_u32_e32 vcc, 0, v7
	v_cndmask_b32_e64 v7, 0, 1, vcc
	v_lshrrev_b32_e32 v9, 8, v8
	v_bfe_u32 v10, v8, 20, 11
	v_and_or_b32 v7, v9, s10, v7
	v_sub_u32_e32 v11, 0x3f1, v10
	v_or_b32_e32 v9, 0x1000, v7
	v_med3_i32 v11, v11, 0, 13
	v_lshrrev_b32_e32 v12, v11, v9
	v_lshlrev_b32_e32 v11, v11, v12
	v_cmp_ne_u32_e32 vcc, v11, v9
	v_cndmask_b32_e64 v9, 0, 1, vcc
	v_add_u32_e32 v10, 0xfffffc10, v10
	v_or_b32_e32 v9, v12, v9
	v_lshl_or_b32 v11, v10, 12, v7
	v_cmp_gt_i32_e32 vcc, 1, v10
	v_cndmask_b32_e32 v9, v11, v9, vcc
	v_and_b32_e32 v11, 7, v9
	v_cmp_lt_i32_e32 vcc, 5, v11
	v_cmp_eq_u32_e64 s[0:1], 3, v11
	v_lshrrev_b32_e32 v9, 2, v9
	s_or_b64 vcc, s[0:1], vcc
	v_addc_co_u32_e32 v1, vcc, 0, v9, vcc
	v_cmp_gt_i32_e32 vcc, 31, v10
	v_cndmask_b32_e32 v1, v2, v1, vcc
	v_cmp_ne_u32_e32 vcc, 0, v7
	v_cndmask_b32_e64 v7, 0, 1, vcc
	v_lshl_or_b32 v7, v7, 9, v2
	v_cmp_eq_u32_e32 vcc, s14, v10
	v_and_or_b32 v5, v6, s11, v5
	v_cndmask_b32_e32 v1, v1, v7, vcc
	v_lshrrev_b32_e32 v7, 16, v8
	v_cmp_ne_u32_e32 vcc, 0, v5
	v_and_or_b32 v1, v7, s15, v1
	v_cndmask_b32_e64 v5, 0, 1, vcc
	v_lshrrev_b32_e32 v7, 8, v6
	v_bfe_u32 v8, v6, 20, 11
	v_and_or_b32 v5, v7, s10, v5
	v_sub_u32_e32 v9, 0x3f1, v8
	v_or_b32_e32 v7, 0x1000, v5
	v_med3_i32 v9, v9, 0, 13
	v_lshrrev_b32_e32 v10, v9, v7
	v_lshlrev_b32_e32 v9, v9, v10
	v_cmp_ne_u32_e32 vcc, v9, v7
	v_cndmask_b32_e64 v7, 0, 1, vcc
	v_add_u32_e32 v8, 0xfffffc10, v8
	v_or_b32_e32 v7, v10, v7
	v_lshl_or_b32 v9, v8, 12, v5
	v_cmp_gt_i32_e32 vcc, 1, v8
	v_cndmask_b32_e32 v7, v9, v7, vcc
	v_and_b32_e32 v9, 7, v7
	v_cmp_lt_i32_e32 vcc, 5, v9
	v_cmp_eq_u32_e64 s[0:1], 3, v9
	v_lshrrev_b32_e32 v7, 2, v7
	s_or_b64 vcc, s[0:1], vcc
	v_addc_co_u32_e32 v7, vcc, 0, v7, vcc
	v_cmp_gt_i32_e32 vcc, 31, v8
	v_cndmask_b32_e32 v7, v2, v7, vcc
	v_cmp_ne_u32_e32 vcc, 0, v5
	v_cndmask_b32_e64 v5, 0, 1, vcc
	v_lshl_or_b32 v2, v5, 9, v2
	v_cmp_eq_u32_e32 vcc, s14, v8
	v_cndmask_b32_e32 v2, v7, v2, vcc
	v_lshrrev_b32_e32 v5, 16, v6
	v_and_or_b32 v2, v5, s15, v2
	v_and_b32_e32 v1, 0xffff, v1
	v_lshl_or_b32 v5, v2, 16, v1
	v_add_co_u32_e32 v1, vcc, s6, v3
	v_addc_co_u32_e32 v2, vcc, v4, v0, vcc
	global_store_dword v[1:2], v5, off
.LBB0_23:
	s_endpgm
	.section	.rodata,"a",@progbits
	.p2align	6, 0x0
	.amdhsa_kernel bluestein_single_back_len640_dim1_half_op_CI_CI
		.amdhsa_group_segment_fixed_size 5120
		.amdhsa_private_segment_fixed_size 0
		.amdhsa_kernarg_size 104
		.amdhsa_user_sgpr_count 6
		.amdhsa_user_sgpr_private_segment_buffer 1
		.amdhsa_user_sgpr_dispatch_ptr 0
		.amdhsa_user_sgpr_queue_ptr 0
		.amdhsa_user_sgpr_kernarg_segment_ptr 1
		.amdhsa_user_sgpr_dispatch_id 0
		.amdhsa_user_sgpr_flat_scratch_init 0
		.amdhsa_user_sgpr_private_segment_size 0
		.amdhsa_uses_dynamic_stack 0
		.amdhsa_system_sgpr_private_segment_wavefront_offset 0
		.amdhsa_system_sgpr_workgroup_id_x 1
		.amdhsa_system_sgpr_workgroup_id_y 0
		.amdhsa_system_sgpr_workgroup_id_z 0
		.amdhsa_system_sgpr_workgroup_info 0
		.amdhsa_system_vgpr_workitem_id 0
		.amdhsa_next_free_vgpr 82
		.amdhsa_next_free_sgpr 18
		.amdhsa_reserve_vcc 1
		.amdhsa_reserve_flat_scratch 0
		.amdhsa_float_round_mode_32 0
		.amdhsa_float_round_mode_16_64 0
		.amdhsa_float_denorm_mode_32 3
		.amdhsa_float_denorm_mode_16_64 3
		.amdhsa_dx10_clamp 1
		.amdhsa_ieee_mode 1
		.amdhsa_fp16_overflow 0
		.amdhsa_exception_fp_ieee_invalid_op 0
		.amdhsa_exception_fp_denorm_src 0
		.amdhsa_exception_fp_ieee_div_zero 0
		.amdhsa_exception_fp_ieee_overflow 0
		.amdhsa_exception_fp_ieee_underflow 0
		.amdhsa_exception_fp_ieee_inexact 0
		.amdhsa_exception_int_div_zero 0
	.end_amdhsa_kernel
	.text
.Lfunc_end0:
	.size	bluestein_single_back_len640_dim1_half_op_CI_CI, .Lfunc_end0-bluestein_single_back_len640_dim1_half_op_CI_CI
                                        ; -- End function
	.section	.AMDGPU.csdata,"",@progbits
; Kernel info:
; codeLenInByte = 19792
; NumSgprs: 22
; NumVgprs: 82
; ScratchSize: 0
; MemoryBound: 0
; FloatMode: 240
; IeeeMode: 1
; LDSByteSize: 5120 bytes/workgroup (compile time only)
; SGPRBlocks: 2
; VGPRBlocks: 20
; NumSGPRsForWavesPerEU: 22
; NumVGPRsForWavesPerEU: 82
; Occupancy: 3
; WaveLimiterHint : 1
; COMPUTE_PGM_RSRC2:SCRATCH_EN: 0
; COMPUTE_PGM_RSRC2:USER_SGPR: 6
; COMPUTE_PGM_RSRC2:TRAP_HANDLER: 0
; COMPUTE_PGM_RSRC2:TGID_X_EN: 1
; COMPUTE_PGM_RSRC2:TGID_Y_EN: 0
; COMPUTE_PGM_RSRC2:TGID_Z_EN: 0
; COMPUTE_PGM_RSRC2:TIDIG_COMP_CNT: 0
	.type	__hip_cuid_20adb01b14e43c8f,@object ; @__hip_cuid_20adb01b14e43c8f
	.section	.bss,"aw",@nobits
	.globl	__hip_cuid_20adb01b14e43c8f
__hip_cuid_20adb01b14e43c8f:
	.byte	0                               ; 0x0
	.size	__hip_cuid_20adb01b14e43c8f, 1

	.ident	"AMD clang version 19.0.0git (https://github.com/RadeonOpenCompute/llvm-project roc-6.4.0 25133 c7fe45cf4b819c5991fe208aaa96edf142730f1d)"
	.section	".note.GNU-stack","",@progbits
	.addrsig
	.addrsig_sym __hip_cuid_20adb01b14e43c8f
	.amdgpu_metadata
---
amdhsa.kernels:
  - .args:
      - .actual_access:  read_only
        .address_space:  global
        .offset:         0
        .size:           8
        .value_kind:     global_buffer
      - .actual_access:  read_only
        .address_space:  global
        .offset:         8
        .size:           8
        .value_kind:     global_buffer
      - .actual_access:  read_only
        .address_space:  global
        .offset:         16
        .size:           8
        .value_kind:     global_buffer
      - .actual_access:  read_only
        .address_space:  global
        .offset:         24
        .size:           8
        .value_kind:     global_buffer
      - .actual_access:  read_only
        .address_space:  global
        .offset:         32
        .size:           8
        .value_kind:     global_buffer
      - .offset:         40
        .size:           8
        .value_kind:     by_value
      - .address_space:  global
        .offset:         48
        .size:           8
        .value_kind:     global_buffer
      - .address_space:  global
        .offset:         56
        .size:           8
        .value_kind:     global_buffer
      - .address_space:  global
        .offset:         64
        .size:           8
        .value_kind:     global_buffer
      - .address_space:  global
        .offset:         72
        .size:           8
        .value_kind:     global_buffer
      - .offset:         80
        .size:           4
        .value_kind:     by_value
      - .address_space:  global
        .offset:         88
        .size:           8
        .value_kind:     global_buffer
      - .address_space:  global
        .offset:         96
        .size:           8
        .value_kind:     global_buffer
    .group_segment_fixed_size: 5120
    .kernarg_segment_align: 8
    .kernarg_segment_size: 104
    .language:       OpenCL C
    .language_version:
      - 2
      - 0
    .max_flat_workgroup_size: 128
    .name:           bluestein_single_back_len640_dim1_half_op_CI_CI
    .private_segment_fixed_size: 0
    .sgpr_count:     22
    .sgpr_spill_count: 0
    .symbol:         bluestein_single_back_len640_dim1_half_op_CI_CI.kd
    .uniform_work_group_size: 1
    .uses_dynamic_stack: false
    .vgpr_count:     82
    .vgpr_spill_count: 0
    .wavefront_size: 64
amdhsa.target:   amdgcn-amd-amdhsa--gfx906
amdhsa.version:
  - 1
  - 2
...

	.end_amdgpu_metadata
